;; amdgpu-corpus repo=ROCm/rocFFT kind=compiled arch=gfx1201 opt=O3
	.text
	.amdgcn_target "amdgcn-amd-amdhsa--gfx1201"
	.amdhsa_code_object_version 6
	.protected	bluestein_single_back_len1680_dim1_sp_op_CI_CI ; -- Begin function bluestein_single_back_len1680_dim1_sp_op_CI_CI
	.globl	bluestein_single_back_len1680_dim1_sp_op_CI_CI
	.p2align	8
	.type	bluestein_single_back_len1680_dim1_sp_op_CI_CI,@function
bluestein_single_back_len1680_dim1_sp_op_CI_CI: ; @bluestein_single_back_len1680_dim1_sp_op_CI_CI
; %bb.0:
	s_load_b128 s[8:11], s[0:1], 0x28
	v_mul_u32_u24_e32 v1, 0x24a, v0
	s_mov_b32 s2, exec_lo
	v_mov_b32_e32 v121, 0
	s_delay_alu instid0(VALU_DEP_2) | instskip(NEXT) | instid1(VALU_DEP_1)
	v_lshrrev_b32_e32 v1, 16, v1
	v_add_nc_u32_e32 v120, ttmp9, v1
	s_wait_kmcnt 0x0
	s_delay_alu instid0(VALU_DEP_1)
	v_cmpx_gt_u64_e64 s[8:9], v[120:121]
	s_cbranch_execz .LBB0_47
; %bb.1:
	s_clause 0x1
	s_load_b128 s[4:7], s[0:1], 0x18
	s_load_b64 s[16:17], s[0:1], 0x0
	v_mul_lo_u16 v1, 0x70, v1
	s_movk_i32 s2, 0xfd28
	s_mov_b32 s3, -1
	s_delay_alu instid0(VALU_DEP_1) | instskip(NEXT) | instid1(VALU_DEP_1)
	v_sub_nc_u16 v39, v0, v1
	v_and_b32_e32 v144, 0xffff, v39
	s_wait_kmcnt 0x0
	s_load_b128 s[12:15], s[4:5], 0x0
	s_wait_kmcnt 0x0
	v_mad_co_u64_u32 v[0:1], null, s14, v120, 0
	v_mad_co_u64_u32 v[2:3], null, s12, v144, 0
	s_mul_u64 s[4:5], s[12:13], 0x348
	s_mul_u64 s[2:3], s[12:13], s[2:3]
	s_delay_alu instid0(SALU_CYCLE_1) | instskip(NEXT) | instid1(VALU_DEP_1)
	s_lshl_b64 s[2:3], s[2:3], 3
	v_mad_co_u64_u32 v[4:5], null, s15, v120, v[1:2]
	s_delay_alu instid0(VALU_DEP_1) | instskip(NEXT) | instid1(VALU_DEP_3)
	v_mov_b32_e32 v1, v4
	v_mad_co_u64_u32 v[5:6], null, s13, v144, v[3:4]
	v_lshlrev_b32_e32 v143, 3, v144
	s_delay_alu instid0(VALU_DEP_3)
	v_lshlrev_b64_e32 v[0:1], 3, v[0:1]
	global_load_b64 v[131:132], v143, s[16:17] offset:6720
	v_mov_b32_e32 v3, v5
	s_clause 0x3
	global_load_b64 v[133:134], v143, s[16:17]
	global_load_b64 v[129:130], v143, s[16:17] offset:896
	global_load_b64 v[116:117], v143, s[16:17] offset:1792
	;; [unrolled: 1-line block ×3, first 2 shown]
	v_add_co_u32 v0, vcc_lo, s10, v0
	v_add_co_ci_u32_e32 v1, vcc_lo, s11, v1, vcc_lo
	v_lshlrev_b64_e32 v[2:3], 3, v[2:3]
	s_clause 0x5
	global_load_b64 v[127:128], v143, s[16:17] offset:7616
	global_load_b64 v[121:122], v143, s[16:17] offset:8512
	;; [unrolled: 1-line block ×6, first 2 shown]
	s_lshl_b64 s[10:11], s[4:5], 3
	v_add_co_u32 v0, vcc_lo, v0, v2
	s_wait_alu 0xfffd
	v_add_co_ci_u32_e32 v1, vcc_lo, v1, v3, vcc_lo
	s_wait_alu 0xfffe
	s_delay_alu instid0(VALU_DEP_2)
	v_add_co_u32 v2, vcc_lo, v0, s10
	global_load_b64 v[7:8], v[0:1], off
	s_wait_alu 0xfffd
	v_add_co_ci_u32_e32 v3, vcc_lo, s11, v1, vcc_lo
	v_add_co_u32 v4, vcc_lo, v2, s2
	s_wait_alu 0xfffd
	s_delay_alu instid0(VALU_DEP_2) | instskip(NEXT) | instid1(VALU_DEP_2)
	v_add_co_ci_u32_e32 v5, vcc_lo, s3, v3, vcc_lo
	v_add_co_u32 v0, vcc_lo, v4, s10
	s_wait_alu 0xfffd
	s_delay_alu instid0(VALU_DEP_2) | instskip(NEXT) | instid1(VALU_DEP_2)
	v_add_co_ci_u32_e32 v1, vcc_lo, s11, v5, vcc_lo
	v_add_co_u32 v9, vcc_lo, v0, s2
	s_wait_alu 0xfffd
	s_delay_alu instid0(VALU_DEP_2)
	v_add_co_ci_u32_e32 v10, vcc_lo, s3, v1, vcc_lo
	s_wait_loadcnt 0x0
	v_mul_f32_e32 v34, v7, v134
	v_add_nc_u32_e32 v6, 0x1c00, v143
	global_load_b64 v[112:113], v143, s[16:17] offset:11200
	s_clause 0x2
	global_load_b64 v[2:3], v[2:3], off
	global_load_b64 v[11:12], v[4:5], off
	;; [unrolled: 1-line block ×3, first 2 shown]
	v_add_co_u32 v0, vcc_lo, v9, s10
	s_wait_alu 0xfffd
	v_add_co_ci_u32_e32 v1, vcc_lo, s11, v10, vcc_lo
	global_load_b64 v[9:10], v[9:10], off
	v_add_co_u32 v4, vcc_lo, v0, s2
	s_wait_alu 0xfffd
	v_add_co_ci_u32_e32 v5, vcc_lo, s3, v1, vcc_lo
	global_load_b64 v[15:16], v[0:1], off
	;; [unrolled: 4-line block ×8, first 2 shown]
	v_add_co_u32 v0, vcc_lo, v4, s10
	s_wait_alu 0xfffd
	v_add_co_ci_u32_e32 v1, vcc_lo, s11, v5, vcc_lo
	global_load_b64 v[123:124], v143, s[16:17] offset:5376
	global_load_b64 v[29:30], v[4:5], off
	global_load_b64 v[125:126], v143, s[16:17] offset:12096
	global_load_b64 v[31:32], v[0:1], off
	v_dual_mul_f32 v33, v8, v134 :: v_dual_add_nc_u32 v4, 0x2400, v143
	v_add_nc_u32_e32 v5, 0x400, v143
	v_fma_f32 v34, v8, v133, -v34
	s_load_b64 s[8:9], s[0:1], 0x38
	s_load_b128 s[4:7], s[6:7], 0x0
	v_fmac_f32_e32 v33, v7, v133
	v_add_co_u32 v104, s12, s16, v143
	s_wait_alu 0xf1ff
	v_add_co_ci_u32_e64 v105, null, s17, 0, s12
	v_cmp_gt_u16_e32 vcc_lo, 56, v39
	s_wait_loadcnt 0xd
	v_dual_mul_f32 v7, v2, v132 :: v_dual_mul_f32 v38, v11, v130
	v_mul_f32_e32 v35, v3, v132
	v_mul_f32_e32 v37, v12, v130
	s_delay_alu instid0(VALU_DEP_3) | instskip(SKIP_4) | instid1(VALU_DEP_3)
	v_fma_f32 v38, v12, v129, -v38
	s_wait_loadcnt 0xb
	v_mul_f32_e32 v8, v10, v117
	v_fmac_f32_e32 v35, v2, v131
	v_dual_fmac_f32 v37, v11, v129 :: v_dual_mul_f32 v2, v14, v128
	v_fmac_f32_e32 v8, v9, v116
	s_wait_loadcnt 0xa
	v_mul_f32_e32 v12, v15, v122
	v_fma_f32 v36, v3, v131, -v7
	v_mul_f32_e32 v3, v13, v128
	v_dual_mul_f32 v11, v16, v122 :: v_dual_fmac_f32 v2, v13, v127
	s_wait_loadcnt 0x9
	v_mul_f32_e32 v13, v18, v107
	v_fma_f32 v12, v16, v121, -v12
	v_fma_f32 v3, v14, v127, -v3
	v_mul_f32_e32 v14, v9, v117
	ds_store_b64 v143, v[35:36] offset:6720
	ds_store_2addr_b64 v143, v[33:34], v[37:38] offset1:112
	v_fmac_f32_e32 v13, v17, v106
	v_add_nc_u32_e32 v7, 0xc00, v143
	v_fma_f32 v9, v10, v116, -v14
	s_wait_loadcnt 0x7
	v_dual_mul_f32 v10, v22, v119 :: v_dual_fmac_f32 v11, v15, v121
	v_mul_f32_e32 v15, v17, v107
	s_delay_alu instid0(VALU_DEP_2)
	v_fmac_f32_e32 v10, v21, v118
	ds_store_2addr_b64 v6, v[2:3], v[11:12] offset0:56 offset1:168
	v_fma_f32 v14, v18, v106, -v15
	v_mul_f32_e32 v3, v19, v109
	v_mul_f32_e32 v2, v20, v109
	s_wait_loadcnt 0x5
	v_mul_f32_e32 v12, v25, v115
	ds_store_2addr_b64 v5, v[8:9], v[13:14] offset0:96 offset1:208
	v_mul_f32_e32 v9, v21, v119
	v_fma_f32 v3, v20, v108, -v3
	v_mul_f32_e32 v8, v24, v111
	v_fma_f32 v14, v26, v114, -v12
	s_wait_loadcnt 0x4
	v_dual_mul_f32 v12, v27, v113 :: v_dual_mul_f32 v13, v26, v115
	s_wait_loadcnt 0x0
	v_dual_mul_f32 v17, v30, v124 :: v_dual_mul_f32 v20, v31, v126
	v_fma_f32 v11, v22, v118, -v9
	v_dual_mul_f32 v9, v23, v111 :: v_dual_mul_f32 v18, v29, v124
	v_dual_fmac_f32 v2, v19, v108 :: v_dual_mul_f32 v15, v28, v113
	v_mul_f32_e32 v19, v32, v126
	v_fmac_f32_e32 v8, v23, v110
	s_delay_alu instid0(VALU_DEP_4)
	v_fma_f32 v9, v24, v110, -v9
	v_fma_f32 v16, v28, v112, -v12
	v_dual_fmac_f32 v13, v25, v114 :: v_dual_add_nc_u32 v12, 0x2800, v143
	v_fmac_f32_e32 v17, v29, v123
	v_fma_f32 v18, v30, v123, -v18
	v_fmac_f32_e32 v15, v27, v112
	v_fmac_f32_e32 v19, v31, v125
	v_fma_f32 v20, v32, v125, -v20
	ds_store_2addr_b64 v4, v[2:3], v[8:9] offset0:24 offset1:136
	ds_store_2addr_b64 v7, v[10:11], v[13:14] offset0:64 offset1:176
	ds_store_b64 v143, v[17:18] offset:5376
	ds_store_2addr_b64 v12, v[15:16], v[19:20] offset0:120 offset1:232
	s_and_saveexec_b32 s12, vcc_lo
	s_cbranch_execz .LBB0_3
; %bb.2:
	v_add_co_u32 v0, s2, v0, s2
	s_wait_alu 0xf1ff
	v_add_co_ci_u32_e64 v1, s2, s3, v1, s2
	s_delay_alu instid0(VALU_DEP_2) | instskip(SKIP_1) | instid1(VALU_DEP_2)
	v_add_co_u32 v2, s2, v0, s10
	s_wait_alu 0xf1ff
	v_add_co_ci_u32_e64 v3, s2, s11, v1, s2
	global_load_b64 v[0:1], v[0:1], off
	s_clause 0x1
	global_load_b64 v[8:9], v[104:105], off offset:6272
	global_load_b64 v[10:11], v[104:105], off offset:12992
	global_load_b64 v[2:3], v[2:3], off
	s_wait_loadcnt 0x2
	v_mul_f32_e32 v13, v1, v9
	s_wait_loadcnt 0x0
	v_dual_mul_f32 v14, v0, v9 :: v_dual_mul_f32 v9, v3, v11
	v_mul_f32_e32 v11, v2, v11
	s_delay_alu instid0(VALU_DEP_3) | instskip(NEXT) | instid1(VALU_DEP_3)
	v_fmac_f32_e32 v13, v0, v8
	v_fma_f32 v14, v1, v8, -v14
	s_delay_alu instid0(VALU_DEP_4) | instskip(NEXT) | instid1(VALU_DEP_4)
	v_fmac_f32_e32 v9, v2, v10
	v_fma_f32 v10, v3, v10, -v11
	ds_store_b64 v143, v[13:14] offset:6272
	ds_store_b64 v143, v[9:10] offset:12992
.LBB0_3:
	s_wait_alu 0xfffe
	s_or_b32 exec_lo, exec_lo, s12
	v_add_nc_u32_e32 v0, 0x1400, v143
	global_wb scope:SCOPE_SE
	s_wait_dscnt 0x0
	s_wait_kmcnt 0x0
	s_barrier_signal -1
	s_barrier_wait -1
	global_inv scope:SCOPE_SE
	ds_load_2addr_b64 v[16:19], v143 offset1:112
	ds_load_2addr_b64 v[0:3], v0 offset0:32 offset1:200
	ds_load_2addr_b64 v[24:27], v6 offset0:56 offset1:168
	;; [unrolled: 1-line block ×6, first 2 shown]
                                        ; implicit-def: $vgpr30
                                        ; implicit-def: $vgpr28
	s_and_saveexec_b32 s2, vcc_lo
	s_cbranch_execz .LBB0_5
; %bb.4:
	ds_load_b64 v[28:29], v143 offset:6272
	ds_load_b64 v[30:31], v143 offset:12992
.LBB0_5:
	s_wait_alu 0xfffe
	s_or_b32 exec_lo, exec_lo, s2
	s_load_b64 s[2:3], s[0:1], 0x8
	s_wait_dscnt 0x5
	v_dual_sub_f32 v37, v16, v2 :: v_dual_lshlrev_b32 v34, 1, v144
	s_wait_dscnt 0x4
	v_dual_sub_f32 v38, v17, v3 :: v_dual_sub_f32 v43, v19, v25
	s_wait_dscnt 0x3
	v_dual_sub_f32 v42, v18, v24 :: v_dual_sub_f32 v27, v9, v27
	v_sub_f32_e32 v26, v8, v26
	v_add_co_u32 v83, s0, 0x70, v144
	s_wait_alu 0xf1ff
	v_add_co_ci_u32_e64 v32, null, 0, 0, s0
	v_add_co_u32 v82, null, 0xe0, v144
	v_add_co_u32 v33, null, 0x150, v144
	;; [unrolled: 1-line block ×4, first 2 shown]
	v_fma_f32 v35, v16, 2.0, -v37
	v_fma_f32 v36, v17, 2.0, -v38
	;; [unrolled: 1-line block ×4, first 2 shown]
	s_wait_dscnt 0x2
	v_sub_f32_e32 v19, v11, v21
	v_fma_f32 v24, v8, 2.0, -v26
	s_wait_dscnt 0x1
	v_dual_sub_f32 v18, v10, v20 :: v_dual_sub_f32 v23, v5, v23
	v_fma_f32 v25, v9, 2.0, -v27
	s_wait_dscnt 0x0
	v_dual_sub_f32 v22, v4, v22 :: v_dual_sub_f32 v9, v7, v13
	v_dual_sub_f32 v8, v6, v12 :: v_dual_sub_f32 v13, v1, v15
	;; [unrolled: 1-line block ×3, first 2 shown]
	v_dual_sub_f32 v2, v28, v30 :: v_dual_lshlrev_b32 v149, 4, v83
	v_lshlrev_b32_e32 v148, 4, v144
	v_fma_f32 v16, v10, 2.0, -v18
	v_fma_f32 v17, v11, 2.0, -v19
	v_fma_f32 v10, v0, 2.0, -v12
	v_fma_f32 v11, v1, 2.0, -v13
	v_fma_f32 v0, v28, 2.0, -v2
	v_fma_f32 v1, v29, 2.0, -v3
	global_wb scope:SCOPE_SE
	s_wait_kmcnt 0x0
	s_barrier_signal -1
	s_barrier_wait -1
	global_inv scope:SCOPE_SE
	v_lshlrev_b32_e32 v150, 4, v82
	ds_store_b128 v148, v[35:38]
	v_lshlrev_b32_e32 v38, 1, v83
	v_lshlrev_b32_e32 v37, 1, v82
	;; [unrolled: 1-line block ×6, first 2 shown]
	v_add_nc_u32_e32 v168, 0x460, v34
	v_add_nc_u32_e32 v170, 0x540, v34
	v_lshlrev_b32_e32 v152, 4, v39
	v_fma_f32 v20, v4, 2.0, -v22
	v_fma_f32 v21, v5, 2.0, -v23
	;; [unrolled: 1-line block ×4, first 2 shown]
	v_lshlrev_b32_e32 v4, 3, v34
	ds_store_b128 v149, v[40:43]
	ds_store_b128 v150, v[24:27]
	ds_store_b128 v151, v[16:19]
	ds_store_b128 v153, v[20:23]
	ds_store_b128 v4, v[6:9] offset:8960
	ds_store_b128 v4, v[10:13] offset:10752
	s_and_saveexec_b32 s0, vcc_lo
	s_cbranch_execz .LBB0_7
; %bb.6:
	ds_store_b128 v152, v[0:3]
.LBB0_7:
	s_wait_alu 0xfffe
	s_or_b32 exec_lo, exec_lo, s0
	v_add_nc_u32_e32 v12, 0x1c00, v143
	v_add_nc_u32_e32 v4, 0x1400, v143
	;; [unrolled: 1-line block ×6, first 2 shown]
	global_wb scope:SCOPE_SE
	s_wait_dscnt 0x0
	s_barrier_signal -1
	s_barrier_wait -1
	global_inv scope:SCOPE_SE
	ds_load_2addr_b64 v[8:11], v143 offset1:112
	ds_load_2addr_b64 v[4:7], v4 offset0:32 offset1:200
	ds_load_2addr_b64 v[28:31], v12 offset0:56 offset1:168
	;; [unrolled: 1-line block ×6, first 2 shown]
	s_and_saveexec_b32 s0, vcc_lo
	s_cbranch_execz .LBB0_9
; %bb.8:
	ds_load_b64 v[0:1], v143 offset:6272
	ds_load_b64 v[2:3], v143 offset:12992
.LBB0_9:
	s_wait_alu 0xfffe
	s_or_b32 exec_lo, exec_lo, s0
	v_and_b32_e32 v146, 1, v144
	s_delay_alu instid0(VALU_DEP_1)
	v_lshlrev_b32_e32 v40, 3, v146
	v_and_or_b32 v43, 0x7fc, v36, v146
	v_and_or_b32 v41, 0x3fc, v37, v146
	;; [unrolled: 1-line block ×4, first 2 shown]
	global_load_b64 v[135:136], v40, s[2:3]
	v_lshlrev_b32_e32 v145, 1, v39
	v_and_or_b32 v39, 0xfc, v34, v146
	v_and_or_b32 v40, 0x1fc, v38, v146
	v_lshlrev_b32_e32 v157, 3, v43
	v_lshlrev_b32_e32 v159, 3, v41
	;; [unrolled: 1-line block ×4, first 2 shown]
	global_wb scope:SCOPE_SE
	s_wait_loadcnt_dscnt 0x0
	s_barrier_signal -1
	s_barrier_wait -1
	global_inv scope:SCOPE_SE
	v_mul_f32_e32 v42, v28, v136
	v_mul_f32_e32 v46, v24, v136
	;; [unrolled: 1-line block ×6, first 2 shown]
	v_fmac_f32_e32 v46, v25, v135
	v_lshlrev_b32_e32 v160, 3, v40
	v_mul_f32_e32 v40, v6, v136
	v_dual_mul_f32 v43, v31, v136 :: v_dual_fmac_f32 v42, v29, v135
	v_mul_f32_e32 v49, v21, v136
	v_fma_f32 v6, v6, v135, -v39
	s_delay_alu instid0(VALU_DEP_4)
	v_fmac_f32_e32 v40, v7, v135
	v_mul_f32_e32 v53, v3, v136
	v_fma_f32 v7, v28, v135, -v41
	v_fmac_f32_e32 v54, v3, v135
	v_mul_f32_e32 v50, v20, v136
	v_mul_f32_e32 v51, v23, v136
	v_fma_f32 v28, v30, v135, -v43
	v_mul_f32_e32 v48, v26, v136
	v_sub_f32_e32 v3, v9, v40
	v_fmac_f32_e32 v50, v21, v135
	v_lshlrev_b32_e32 v156, 3, v44
	v_mul_f32_e32 v44, v30, v136
	v_fma_f32 v30, v2, v135, -v53
	v_sub_f32_e32 v2, v8, v6
	v_dual_sub_f32 v6, v10, v7 :: v_dual_sub_f32 v7, v11, v42
	v_and_or_b32 v45, 0x7fc, v170, v146
	v_fmac_f32_e32 v44, v31, v135
	v_fmac_f32_e32 v48, v27, v135
	v_fma_f32 v29, v22, v135, -v51
	s_delay_alu instid0(VALU_DEP_4) | instskip(SKIP_3) | instid1(VALU_DEP_4)
	v_dual_mul_f32 v52, v22, v136 :: v_dual_lshlrev_b32 v155, 3, v45
	v_mul_f32_e32 v45, v25, v136
	v_fma_f32 v25, v26, v135, -v47
	v_fma_f32 v26, v20, v135, -v49
	v_dual_sub_f32 v39, v4, v29 :: v_dual_fmac_f32 v52, v23, v135
	v_sub_f32_e32 v21, v17, v44
	v_fma_f32 v24, v24, v135, -v45
	v_sub_f32_e32 v30, v0, v30
	v_dual_sub_f32 v20, v16, v28 :: v_dual_sub_f32 v23, v19, v46
	v_sub_f32_e32 v26, v14, v26
	s_delay_alu instid0(VALU_DEP_4)
	v_sub_f32_e32 v22, v18, v24
	v_dual_sub_f32 v24, v12, v25 :: v_dual_sub_f32 v25, v13, v48
	v_sub_f32_e32 v31, v1, v54
	v_dual_sub_f32 v27, v15, v50 :: v_dual_sub_f32 v40, v5, v52
	v_fma_f32 v8, v8, 2.0, -v2
	v_fma_f32 v9, v9, 2.0, -v3
	;; [unrolled: 1-line block ×16, first 2 shown]
	ds_store_2addr_b64 v161, v[8:9], v[2:3] offset1:2
	ds_store_2addr_b64 v160, v[10:11], v[6:7] offset1:2
	;; [unrolled: 1-line block ×7, first 2 shown]
	s_and_saveexec_b32 s0, vcc_lo
	s_cbranch_execz .LBB0_11
; %bb.10:
	v_and_or_b32 v0, 0x6fc, v145, v146
	s_delay_alu instid0(VALU_DEP_1)
	v_lshlrev_b32_e32 v0, 3, v0
	ds_store_2addr_b64 v0, v[28:29], v[30:31] offset1:2
.LBB0_11:
	s_wait_alu 0xfffe
	s_or_b32 exec_lo, exec_lo, s0
	v_add_nc_u32_e32 v8, 0x1c00, v143
	v_add_nc_u32_e32 v0, 0x1400, v143
	;; [unrolled: 1-line block ×6, first 2 shown]
	global_wb scope:SCOPE_SE
	s_wait_dscnt 0x0
	s_barrier_signal -1
	s_barrier_wait -1
	global_inv scope:SCOPE_SE
	ds_load_2addr_b64 v[4:7], v143 offset1:112
	ds_load_2addr_b64 v[0:3], v0 offset0:32 offset1:200
	ds_load_2addr_b64 v[24:27], v8 offset0:56 offset1:168
	;; [unrolled: 1-line block ×6, first 2 shown]
	s_and_saveexec_b32 s0, vcc_lo
	s_cbranch_execz .LBB0_13
; %bb.12:
	ds_load_b64 v[28:29], v143 offset:6272
	ds_load_b64 v[30:31], v143 offset:12992
.LBB0_13:
	s_wait_alu 0xfffe
	s_or_b32 exec_lo, exec_lo, s0
	v_and_b32_e32 v147, 3, v144
	s_delay_alu instid0(VALU_DEP_1)
	v_lshlrev_b32_e32 v39, 3, v147
	v_and_or_b32 v40, 0x1f8, v38, v147
	global_load_b64 v[137:138], v39, s[2:3] offset:16
	v_lshlrev_b32_e32 v167, 3, v40
	global_wb scope:SCOPE_SE
	s_wait_loadcnt_dscnt 0x0
	s_barrier_signal -1
	s_barrier_wait -1
	global_inv scope:SCOPE_SE
	v_mul_f32_e32 v46, v20, v138
	v_mul_f32_e32 v40, v2, v138
	v_and_or_b32 v42, 0x3f8, v35, v147
	v_and_or_b32 v44, 0x5f8, v168, v147
	;; [unrolled: 1-line block ×4, first 2 shown]
	v_mul_f32_e32 v48, v22, v138
	v_dual_fmac_f32 v40, v3, v137 :: v_dual_lshlrev_b32 v165, 3, v42
	v_lshlrev_b32_e32 v163, 3, v44
	v_and_or_b32 v43, 0x7f8, v36, v147
	v_and_or_b32 v45, 0x7f8, v170, v147
	v_dual_mul_f32 v44, v26, v138 :: v_dual_lshlrev_b32 v169, 3, v39
	v_dual_mul_f32 v39, v3, v138 :: v_dual_lshlrev_b32 v166, 3, v41
	v_dual_mul_f32 v49, v17, v138 :: v_dual_fmac_f32 v48, v23, v137
	v_dual_mul_f32 v50, v16, v138 :: v_dual_sub_f32 v3, v5, v40
	v_mul_f32_e32 v53, v31, v138
	v_mul_f32_e32 v54, v30, v138
	v_dual_mul_f32 v41, v25, v138 :: v_dual_lshlrev_b32 v164, 3, v43
	v_mul_f32_e32 v42, v24, v138
	v_dual_mul_f32 v43, v27, v138 :: v_dual_lshlrev_b32 v162, 3, v45
	v_dual_mul_f32 v45, v21, v138 :: v_dual_fmac_f32 v44, v27, v137
	s_delay_alu instid0(VALU_DEP_3)
	v_dual_mul_f32 v47, v23, v138 :: v_dual_fmac_f32 v42, v25, v137
	v_dual_mul_f32 v51, v19, v138 :: v_dual_fmac_f32 v46, v21, v137
	v_mul_f32_e32 v52, v18, v138
	v_fma_f32 v2, v2, v137, -v39
	v_fmac_f32_e32 v50, v17, v137
	v_fma_f32 v30, v30, v137, -v53
	v_dual_sub_f32 v23, v9, v48 :: v_dual_fmac_f32 v54, v31, v137
	v_fma_f32 v24, v24, v137, -v41
	v_fma_f32 v25, v26, v137, -v43
	;; [unrolled: 1-line block ×6, first 2 shown]
	v_dual_fmac_f32 v52, v19, v137 :: v_dual_sub_f32 v31, v29, v54
	v_sub_f32_e32 v2, v4, v2
	v_sub_f32_e32 v30, v28, v30
	v_dual_sub_f32 v16, v6, v24 :: v_dual_sub_f32 v17, v7, v42
	v_dual_sub_f32 v18, v12, v25 :: v_dual_sub_f32 v21, v15, v46
	v_sub_f32_e32 v19, v13, v44
	v_dual_sub_f32 v20, v14, v20 :: v_dual_sub_f32 v25, v11, v50
	v_sub_f32_e32 v22, v8, v22
	v_sub_f32_e32 v24, v10, v26
	v_dual_sub_f32 v26, v0, v27 :: v_dual_sub_f32 v27, v1, v52
	v_fma_f32 v4, v4, 2.0, -v2
	v_fma_f32 v5, v5, 2.0, -v3
	;; [unrolled: 1-line block ×16, first 2 shown]
	ds_store_2addr_b64 v169, v[4:5], v[2:3] offset1:4
	ds_store_2addr_b64 v167, v[6:7], v[16:17] offset1:4
	;; [unrolled: 1-line block ×7, first 2 shown]
	s_and_saveexec_b32 s0, vcc_lo
	s_cbranch_execz .LBB0_15
; %bb.14:
	v_and_or_b32 v0, 0x6f8, v145, v147
	s_delay_alu instid0(VALU_DEP_1)
	v_lshlrev_b32_e32 v0, 3, v0
	ds_store_2addr_b64 v0, v[28:29], v[30:31] offset1:4
.LBB0_15:
	s_wait_alu 0xfffe
	s_or_b32 exec_lo, exec_lo, s0
	v_add_nc_u32_e32 v8, 0x1c00, v143
	v_add_nc_u32_e32 v0, 0x1400, v143
	;; [unrolled: 1-line block ×6, first 2 shown]
	global_wb scope:SCOPE_SE
	s_wait_dscnt 0x0
	s_barrier_signal -1
	s_barrier_wait -1
	global_inv scope:SCOPE_SE
	ds_load_2addr_b64 v[4:7], v143 offset1:112
	ds_load_2addr_b64 v[0:3], v0 offset0:32 offset1:200
	ds_load_2addr_b64 v[24:27], v8 offset0:56 offset1:168
	ds_load_2addr_b64 v[12:15], v9 offset0:96 offset1:208
	ds_load_2addr_b64 v[20:23], v10 offset0:24 offset1:136
	ds_load_2addr_b64 v[8:11], v11 offset0:64 offset1:176
	ds_load_2addr_b64 v[16:19], v16 offset0:120 offset1:232
	s_and_saveexec_b32 s0, vcc_lo
	s_cbranch_execz .LBB0_17
; %bb.16:
	ds_load_b64 v[28:29], v143 offset:6272
	ds_load_b64 v[30:31], v143 offset:12992
.LBB0_17:
	s_wait_alu 0xfffe
	s_or_b32 exec_lo, exec_lo, s0
	v_and_b32_e32 v154, 7, v144
	s_delay_alu instid0(VALU_DEP_1)
	v_lshlrev_b32_e32 v39, 3, v154
	v_and_or_b32 v35, 0x3f0, v35, v154
	global_load_b64 v[139:140], v39, s[2:3] offset:48
	v_lshlrev_b32_e32 v174, 3, v35
	global_wb scope:SCOPE_SE
	s_wait_loadcnt_dscnt 0x0
	s_barrier_signal -1
	s_barrier_wait -1
	global_inv scope:SCOPE_SE
	v_mul_f32_e32 v35, v2, v140
	v_mul_f32_e32 v43, v22, v140
	;; [unrolled: 1-line block ×5, first 2 shown]
	v_fmac_f32_e32 v35, v3, v139
	v_and_or_b32 v38, 0x1f0, v38, v154
	v_and_or_b32 v37, 0x3f0, v37, v154
	;; [unrolled: 1-line block ×5, first 2 shown]
	v_lshlrev_b32_e32 v176, 3, v38
	v_dual_mul_f32 v38, v27, v140 :: v_dual_lshlrev_b32 v175, 3, v37
	v_mul_f32_e32 v37, v24, v140
	v_dual_mul_f32 v42, v23, v140 :: v_dual_lshlrev_b32 v177, 3, v34
	v_mul_f32_e32 v34, v3, v140
	v_and_or_b32 v40, 0x7f0, v170, v154
	s_delay_alu instid0(VALU_DEP_4) | instskip(NEXT) | instid1(VALU_DEP_4)
	v_fmac_f32_e32 v37, v25, v139
	v_fma_f32 v22, v22, v139, -v42
	v_dual_mul_f32 v39, v26, v140 :: v_dual_lshlrev_b32 v172, 3, v39
	v_fma_f32 v2, v2, v139, -v34
	v_lshlrev_b32_e32 v173, 3, v36
	v_mul_f32_e32 v36, v25, v140
	v_sub_f32_e32 v22, v8, v22
	v_dual_mul_f32 v44, v17, v140 :: v_dual_fmac_f32 v43, v23, v139
	v_fma_f32 v25, v26, v139, -v38
	v_lshlrev_b32_e32 v171, 3, v40
	v_dual_mul_f32 v40, v21, v140 :: v_dual_fmac_f32 v39, v27, v139
	v_fma_f32 v24, v24, v139, -v36
	v_fma_f32 v26, v16, v139, -v44
	v_fmac_f32_e32 v45, v17, v139
	v_fma_f32 v30, v30, v139, -v48
	v_mul_f32_e32 v41, v20, v140
	v_fma_f32 v20, v20, v139, -v40
	v_sub_f32_e32 v16, v6, v24
	v_sub_f32_e32 v24, v10, v26
	s_delay_alu instid0(VALU_DEP_4) | instskip(SKIP_2) | instid1(VALU_DEP_3)
	v_dual_mul_f32 v46, v19, v140 :: v_dual_fmac_f32 v41, v21, v139
	v_dual_sub_f32 v40, v28, v30 :: v_dual_fmac_f32 v49, v31, v139
	v_sub_f32_e32 v2, v4, v2
	v_fma_f32 v27, v18, v139, -v46
	v_mul_f32_e32 v47, v18, v140
	v_sub_f32_e32 v3, v5, v35
	v_sub_f32_e32 v17, v7, v37
	;; [unrolled: 1-line block ×4, first 2 shown]
	v_dual_fmac_f32 v47, v19, v139 :: v_dual_sub_f32 v20, v14, v20
	v_sub_f32_e32 v19, v13, v39
	v_sub_f32_e32 v21, v15, v41
	;; [unrolled: 1-line block ×6, first 2 shown]
	v_fma_f32 v4, v4, 2.0, -v2
	v_fma_f32 v5, v5, 2.0, -v3
	;; [unrolled: 1-line block ×14, first 2 shown]
	ds_store_2addr_b64 v177, v[4:5], v[2:3] offset1:8
	ds_store_2addr_b64 v176, v[6:7], v[16:17] offset1:8
	;; [unrolled: 1-line block ×7, first 2 shown]
	s_and_saveexec_b32 s0, vcc_lo
	s_cbranch_execz .LBB0_19
; %bb.18:
	v_and_or_b32 v2, 0x6f0, v145, v154
	v_fma_f32 v1, v29, 2.0, -v41
	v_fma_f32 v0, v28, 2.0, -v40
	s_delay_alu instid0(VALU_DEP_3)
	v_lshlrev_b32_e32 v2, 3, v2
	ds_store_2addr_b64 v2, v[0:1], v[40:41] offset1:8
.LBB0_19:
	s_wait_alu 0xfffe
	s_or_b32 exec_lo, exec_lo, s0
	v_and_b32_e32 v30, 15, v144
	global_wb scope:SCOPE_SE
	s_wait_dscnt 0x0
	s_barrier_signal -1
	s_barrier_wait -1
	global_inv scope:SCOPE_SE
	v_lshlrev_b32_e32 v0, 4, v30
	ds_load_b64 v[28:29], v143 offset:12544
	v_lshrrev_b32_e32 v31, 4, v144
	v_lshrrev_b32_e32 v37, 4, v83
	;; [unrolled: 1-line block ×3, first 2 shown]
	global_load_b128 v[12:15], v0, s[2:3] offset:112
	v_add_nc_u32_e32 v34, 0xc00, v143
	v_add_nc_u32_e32 v4, 0x2000, v143
	;; [unrolled: 1-line block ×6, first 2 shown]
	ds_load_2addr_b64 v[0:3], v143 offset1:112
	ds_load_2addr_b64 v[42:45], v34 offset0:64 offset1:176
	ds_load_2addr_b64 v[4:7], v4 offset0:96 offset1:208
	;; [unrolled: 1-line block ×6, first 2 shown]
	v_lshrrev_b32_e32 v33, 4, v33
	v_lshrrev_b32_e32 v32, 4, v32
	v_mul_u32_u24_e32 v31, 48, v31
	v_mul_u32_u24_e32 v37, 48, v37
	;; [unrolled: 1-line block ×5, first 2 shown]
	v_or_b32_e32 v31, v31, v30
	v_add_nc_u32_e32 v39, 0x1c00, v143
	v_add_nc_u32_e32 v49, 0x2c00, v143
	global_wb scope:SCOPE_SE
	s_wait_loadcnt_dscnt 0x0
	s_barrier_signal -1
	s_barrier_wait -1
	global_inv scope:SCOPE_SE
	v_cmp_gt_u16_e64 s0, 16, v144
                                        ; implicit-def: $vgpr78
                                        ; implicit-def: $vgpr74
                                        ; implicit-def: $vgpr80
	v_dual_mul_f32 v50, v11, v13 :: v_dual_mul_f32 v47, v6, v15
	v_mul_f32_e32 v54, v25, v13
	v_dual_mul_f32 v31, v44, v13 :: v_dual_lshlrev_b32 v182, 3, v31
	v_or_b32_e32 v37, v37, v30
	s_delay_alu instid0(VALU_DEP_4) | instskip(SKIP_4) | instid1(VALU_DEP_4)
	v_fmac_f32_e32 v47, v7, v14
	v_or_b32_e32 v38, v38, v30
	v_or_b32_e32 v33, v33, v30
	;; [unrolled: 1-line block ×3, first 2 shown]
	v_dual_mul_f32 v32, v5, v15 :: v_dual_lshlrev_b32 v181, 3, v37
	v_dual_mul_f32 v53, v20, v15 :: v_dual_lshlrev_b32 v180, 3, v38
	s_delay_alu instid0(VALU_DEP_4) | instskip(NEXT) | instid1(VALU_DEP_4)
	v_dual_mul_f32 v46, v7, v15 :: v_dual_lshlrev_b32 v179, 3, v33
	v_dual_mul_f32 v57, v22, v15 :: v_dual_lshlrev_b32 v178, 3, v30
	v_dual_mul_f32 v30, v45, v13 :: v_dual_mul_f32 v33, v4, v15
	v_mul_f32_e32 v37, v9, v13
	v_mul_f32_e32 v38, v8, v13
	v_dual_mul_f32 v51, v10, v13 :: v_dual_mul_f32 v52, v21, v15
	s_delay_alu instid0(VALU_DEP_4)
	v_dual_fmac_f32 v33, v5, v14 :: v_dual_add_nc_u32 v48, 0x2400, v143
	v_dual_mul_f32 v55, v24, v13 :: v_dual_mul_f32 v56, v23, v15
	v_dual_fmac_f32 v53, v21, v14 :: v_dual_mul_f32 v58, v27, v13
	v_mul_f32_e32 v61, v28, v15
	v_dual_mul_f32 v59, v26, v13 :: v_dual_mul_f32 v60, v29, v15
	v_fmac_f32_e32 v57, v23, v14
	v_fma_f32 v30, v44, v12, -v30
	v_fmac_f32_e32 v31, v45, v12
	v_fma_f32 v4, v4, v14, -v32
	v_fma_f32 v5, v8, v12, -v37
	v_fmac_f32_e32 v38, v9, v12
	v_fma_f32 v6, v6, v14, -v46
	v_fma_f32 v7, v10, v12, -v50
	v_fmac_f32_e32 v51, v11, v12
	v_add_f32_e32 v11, v0, v30
	v_fma_f32 v8, v20, v14, -v52
	v_fma_f32 v9, v24, v12, -v54
	v_fmac_f32_e32 v55, v25, v12
	v_fma_f32 v20, v22, v14, -v56
	v_fma_f32 v10, v26, v12, -v58
	v_dual_fmac_f32 v59, v27, v12 :: v_dual_add_f32 v24, v1, v31
	v_fma_f32 v21, v28, v14, -v60
	v_dual_fmac_f32 v61, v29, v14 :: v_dual_add_f32 v22, v30, v4
	v_dual_add_f32 v25, v31, v33 :: v_dual_add_f32 v28, v5, v6
	v_dual_sub_f32 v23, v31, v33 :: v_dual_sub_f32 v26, v30, v4
	v_dual_add_f32 v31, v38, v47 :: v_dual_sub_f32 v44, v51, v53
	v_dual_sub_f32 v29, v38, v47 :: v_dual_add_f32 v30, v3, v38
	v_dual_add_f32 v38, v7, v8 :: v_dual_add_f32 v37, v16, v7
	v_dual_add_f32 v46, v51, v53 :: v_dual_add_f32 v45, v17, v51
	v_dual_sub_f32 v50, v7, v8 :: v_dual_add_f32 v51, v18, v9
	v_add_f32_e32 v52, v9, v20
	v_dual_sub_f32 v54, v55, v57 :: v_dual_add_f32 v7, v30, v47
	v_dual_add_f32 v56, v19, v55 :: v_dual_sub_f32 v65, v10, v21
	v_dual_add_f32 v55, v55, v57 :: v_dual_sub_f32 v58, v9, v20
	v_dual_add_f32 v60, v42, v10 :: v_dual_sub_f32 v63, v59, v61
	v_dual_add_f32 v62, v10, v21 :: v_dual_fmac_f32 v3, -0.5, v31
	v_add_f32_e32 v64, v43, v59
	v_dual_add_f32 v59, v59, v61 :: v_dual_add_f32 v8, v37, v8
	v_fma_f32 v0, -0.5, v22, v0
	v_fma_f32 v1, -0.5, v25, v1
	v_dual_add_f32 v27, v2, v5 :: v_dual_sub_f32 v32, v5, v6
	v_fma_f32 v2, -0.5, v28, v2
	v_dual_add_f32 v4, v11, v4 :: v_dual_add_f32 v9, v45, v53
	v_fma_f32 v10, -0.5, v38, v16
	v_fma_f32 v11, -0.5, v46, v17
	v_dual_add_f32 v5, v24, v33 :: v_dual_add_f32 v16, v51, v20
	v_fmac_f32_e32 v19, -0.5, v55
	v_fma_f32 v18, -0.5, v52, v18
	v_dual_add_f32 v20, v60, v21 :: v_dual_fmac_f32 v43, -0.5, v59
	v_fma_f32 v42, -0.5, v62, v42
	v_dual_add_f32 v21, v64, v61 :: v_dual_fmamk_f32 v22, v23, 0x3f5db3d7, v0
	v_dual_fmac_f32 v0, 0xbf5db3d7, v23 :: v_dual_fmamk_f32 v23, v26, 0xbf5db3d7, v1
	v_dual_fmac_f32 v1, 0x3f5db3d7, v26 :: v_dual_fmamk_f32 v24, v29, 0x3f5db3d7, v2
	v_dual_add_f32 v6, v27, v6 :: v_dual_add_f32 v17, v56, v57
	v_dual_fmac_f32 v2, 0xbf5db3d7, v29 :: v_dual_fmamk_f32 v25, v32, 0xbf5db3d7, v3
	v_dual_fmac_f32 v3, 0x3f5db3d7, v32 :: v_dual_fmamk_f32 v26, v44, 0x3f5db3d7, v10
	;; [unrolled: 1-line block ×7, first 2 shown]
	v_fmac_f32_e32 v43, 0x3f5db3d7, v65
	ds_store_2addr_b64 v182, v[4:5], v[22:23] offset1:16
	ds_store_b64 v182, v[0:1] offset:256
	ds_store_2addr_b64 v181, v[6:7], v[24:25] offset1:16
	ds_store_b64 v181, v[2:3] offset:256
	;; [unrolled: 2-line block ×5, first 2 shown]
	global_wb scope:SCOPE_SE
	s_wait_dscnt 0x0
	s_barrier_signal -1
	s_barrier_wait -1
	global_inv scope:SCOPE_SE
	ds_load_2addr_b64 v[44:47], v143 offset1:112
	ds_load_2addr_b64 v[68:71], v36 offset0:112 offset1:224
	ds_load_2addr_b64 v[64:67], v34 offset0:96 offset1:208
	;; [unrolled: 1-line block ×6, first 2 shown]
	s_and_saveexec_b32 s1, s0
	s_cbranch_execz .LBB0_21
; %bb.20:
	v_add_nc_u32_e32 v0, 0x700, v143
	ds_load_2addr_b64 v[38:41], v0 offset1:240
	v_add_nc_u32_e32 v1, 0x1600, v143
	v_add_nc_u32_e32 v0, 0x2500, v143
	s_wait_dscnt 0x0
	v_mov_b32_e32 v42, v38
	ds_load_b64 v[80:81], v143 offset:13312
	ds_load_2addr_b64 v[76:79], v1 offset1:240
	ds_load_2addr_b64 v[72:75], v0 offset1:240
	v_mov_b32_e32 v43, v39
.LBB0_21:
	s_wait_alu 0xfffe
	s_or_b32 exec_lo, exec_lo, s1
	v_and_b32_e32 v0, 0xff, v144
	v_and_b32_e32 v2, 0xffff, v82
	s_delay_alu instid0(VALU_DEP_2) | instskip(NEXT) | instid1(VALU_DEP_1)
	v_mul_lo_u16 v0, 0xab, v0
	v_lshrrev_b16 v84, 13, v0
	v_and_b32_e32 v0, 0xff, v83
	s_delay_alu instid0(VALU_DEP_2) | instskip(NEXT) | instid1(VALU_DEP_2)
	v_mul_lo_u16 v1, v84, 48
	v_mul_lo_u16 v0, 0xab, v0
	s_delay_alu instid0(VALU_DEP_2) | instskip(NEXT) | instid1(VALU_DEP_2)
	v_sub_nc_u16 v1, v144, v1
	v_lshrrev_b16 v85, 13, v0
	v_mul_u32_u24_e32 v0, 0xaaab, v2
	s_delay_alu instid0(VALU_DEP_3) | instskip(NEXT) | instid1(VALU_DEP_3)
	v_and_b32_e32 v86, 0xff, v1
	v_mul_lo_u16 v2, v85, 48
	s_delay_alu instid0(VALU_DEP_3) | instskip(NEXT) | instid1(VALU_DEP_3)
	v_lshrrev_b32_e32 v3, 21, v0
	v_mad_co_u64_u32 v[0:1], null, v86, 48, s[2:3]
	s_delay_alu instid0(VALU_DEP_2) | instskip(NEXT) | instid1(VALU_DEP_4)
	v_mul_lo_u16 v3, v3, 48
	v_sub_nc_u16 v2, v83, v2
	s_delay_alu instid0(VALU_DEP_2)
	v_sub_nc_u16 v88, v82, v3
	s_clause 0x2
	global_load_b128 v[28:31], v[0:1], off offset:400
	global_load_b128 v[36:39], v[0:1], off offset:368
	global_load_b128 v[32:35], v[0:1], off offset:384
	v_and_b32_e32 v84, 0xffff, v84
	v_mul_lo_u16 v4, v88, 48
	v_and_b32_e32 v87, 0xff, v2
	v_and_b32_e32 v85, 0xffff, v85
	v_and_b32_e32 v183, 0xffff, v88
	s_wait_loadcnt_dscnt 0x201
	v_dual_mul_f32 v93, v52, v29 :: v_dual_and_b32 v0, 0xffff, v4
	s_wait_dscnt 0x0
	v_mul_f32_e32 v95, v48, v31
	v_mul_u32_u24_e32 v84, 0x150, v84
	s_wait_loadcnt 0x0
	v_mul_f32_e32 v91, v56, v35
	v_add_co_u32 v8, s1, s2, v0
	s_wait_alu 0xf1ff
	v_add_co_ci_u32_e64 v9, null, s3, 0, s1
	v_add_lshl_u32 v185, v84, v86, 3
	v_mul_f32_e32 v84, v69, v37
	v_mad_co_u64_u32 v[2:3], null, v87, 48, s[2:3]
	v_mul_f32_e32 v86, v65, v39
	s_clause 0x5
	global_load_b128 v[24:27], v[2:3], off offset:368
	global_load_b128 v[20:23], v[2:3], off offset:384
	;; [unrolled: 1-line block ×6, first 2 shown]
	v_mul_u32_u24_e32 v85, 0x150, v85
	v_mul_f32_e32 v94, v49, v31
	v_mul_f32_e32 v88, v61, v33
	v_dual_mul_f32 v89, v60, v33 :: v_dual_mul_f32 v90, v57, v35
	s_delay_alu instid0(VALU_DEP_4)
	v_add_lshl_u32 v184, v85, v87, 3
	v_mul_f32_e32 v85, v68, v37
	v_dual_mul_f32 v87, v64, v39 :: v_dual_mul_f32 v92, v53, v29
	v_fma_f32 v68, v68, v36, -v84
	v_fma_f32 v64, v64, v38, -v86
	v_fma_f32 v60, v60, v32, -v88
	global_wb scope:SCOPE_SE
	s_wait_loadcnt 0x0
	s_barrier_signal -1
	s_barrier_wait -1
	global_inv scope:SCOPE_SE
	v_fmac_f32_e32 v85, v69, v36
	v_dual_mul_f32 v141, v55, v17 :: v_dual_mul_f32 v190, v77, v7
	v_dual_mul_f32 v96, v71, v25 :: v_dual_mul_f32 v103, v58, v23
	v_dual_mul_f32 v97, v70, v25 :: v_dual_mul_f32 v98, v67, v27
	v_mul_f32_e32 v189, v40, v5
	v_dual_mul_f32 v99, v66, v27 :: v_dual_mul_f32 v100, v63, v21
	v_mul_f32_e32 v187, v50, v19
	v_dual_mul_f32 v101, v62, v21 :: v_dual_mul_f32 v102, v59, v23
	;; [unrolled: 2-line block ×3, first 2 shown]
	v_dual_mul_f32 v186, v51, v19 :: v_dual_mul_f32 v197, v74, v9
	v_dual_mul_f32 v188, v41, v5 :: v_dual_mul_f32 v195, v72, v3
	v_mul_f32_e32 v196, v75, v9
	v_dual_mul_f32 v198, v81, v11 :: v_dual_fmac_f32 v99, v67, v26
	v_fma_f32 v48, v48, v30, -v94
	v_dual_mul_f32 v192, v79, v1 :: v_dual_mul_f32 v199, v80, v11
	v_dual_mul_f32 v194, v73, v3 :: v_dual_fmac_f32 v97, v71, v24
	v_dual_fmac_f32 v87, v65, v38 :: v_dual_fmac_f32 v142, v55, v16
	v_fma_f32 v56, v56, v34, -v90
	v_fmac_f32_e32 v91, v57, v34
	v_fma_f32 v52, v52, v28, -v92
	v_fmac_f32_e32 v95, v49, v30
	v_fma_f32 v49, v70, v24, -v96
	v_fma_f32 v57, v62, v20, -v100
	;; [unrolled: 1-line block ×3, first 2 shown]
	v_fmac_f32_e32 v103, v59, v22
	v_fma_f32 v54, v54, v16, -v141
	v_fma_f32 v50, v50, v18, -v186
	v_fmac_f32_e32 v101, v63, v20
	v_fmac_f32_e32 v187, v51, v18
	v_fma_f32 v40, v40, v4, -v188
	v_fmac_f32_e32 v189, v41, v4
	v_fma_f32 v41, v76, v6, -v190
	v_fma_f32 v59, v74, v8, -v196
	v_add_f32_e32 v62, v68, v48
	v_fmac_f32_e32 v93, v53, v28
	v_fmac_f32_e32 v89, v61, v32
	v_fma_f32 v53, v66, v26, -v98
	v_fma_f32 v61, v80, v10, -v198
	v_fmac_f32_e32 v191, v77, v6
	v_fma_f32 v51, v78, v0, -v192
	v_fma_f32 v55, v72, v2, -v194
	v_fmac_f32_e32 v195, v73, v2
	v_dual_fmac_f32 v197, v75, v8 :: v_dual_add_f32 v72, v53, v54
	v_dual_sub_f32 v48, v68, v48 :: v_dual_add_f32 v63, v85, v95
	v_add_f32_e32 v76, v40, v61
	v_add_f32_e32 v66, v64, v52
	v_sub_f32_e32 v52, v64, v52
	v_fmac_f32_e32 v193, v79, v0
	v_sub_f32_e32 v64, v87, v93
	v_dual_add_f32 v68, v60, v56 :: v_dual_add_f32 v69, v89, v91
	v_add_f32_e32 v84, v66, v62
	v_sub_f32_e32 v56, v56, v60
	v_sub_f32_e32 v60, v91, v89
	v_dual_add_f32 v67, v87, v93 :: v_dual_add_f32 v74, v57, v58
	v_add_f32_e32 v70, v49, v50
	v_fmac_f32_e32 v199, v81, v10
	v_dual_add_f32 v71, v97, v187 :: v_dual_sub_f32 v86, v66, v62
	v_dual_add_f32 v73, v99, v142 :: v_dual_add_f32 v78, v41, v59
	v_dual_sub_f32 v53, v53, v54 :: v_dual_sub_f32 v62, v62, v68
	v_dual_sub_f32 v54, v99, v142 :: v_dual_sub_f32 v57, v58, v57
	v_add_f32_e32 v88, v56, v52
	v_dual_sub_f32 v58, v103, v101 :: v_dual_sub_f32 v65, v85, v95
	v_dual_sub_f32 v40, v40, v61 :: v_dual_sub_f32 v49, v49, v50
	v_add_f32_e32 v80, v51, v55
	v_sub_f32_e32 v50, v97, v187
	v_dual_add_f32 v75, v101, v103 :: v_dual_sub_f32 v66, v68, v66
	v_dual_add_f32 v77, v189, v199 :: v_dual_sub_f32 v90, v56, v52
	v_add_f32_e32 v79, v191, v197
	v_dual_sub_f32 v41, v41, v59 :: v_dual_sub_f32 v52, v52, v48
	v_dual_sub_f32 v59, v191, v197 :: v_dual_add_f32 v92, v72, v70
	v_add_f32_e32 v81, v193, v195
	v_dual_sub_f32 v51, v55, v51 :: v_dual_sub_f32 v94, v72, v70
	v_dual_sub_f32 v55, v195, v193 :: v_dual_sub_f32 v70, v70, v74
	v_dual_add_f32 v85, v67, v63 :: v_dual_sub_f32 v72, v74, v72
	v_dual_sub_f32 v87, v67, v63 :: v_dual_add_f32 v96, v57, v53
	v_sub_f32_e32 v63, v63, v69
	v_sub_f32_e32 v67, v69, v67
	v_dual_add_f32 v89, v60, v64 :: v_dual_sub_f32 v98, v57, v53
	v_dual_sub_f32 v91, v60, v64 :: v_dual_add_f32 v142, v55, v59
	v_dual_add_f32 v93, v73, v71 :: v_dual_add_f32 v100, v78, v76
	v_dual_add_f32 v97, v58, v54 :: v_dual_sub_f32 v186, v51, v41
	v_dual_sub_f32 v61, v189, v199 :: v_dual_sub_f32 v56, v48, v56
	v_sub_f32_e32 v60, v65, v60
	v_dual_sub_f32 v64, v64, v65 :: v_dual_sub_f32 v95, v73, v71
	v_dual_sub_f32 v102, v78, v76 :: v_dual_sub_f32 v71, v71, v75
	;; [unrolled: 1-line block ×3, first 2 shown]
	v_sub_f32_e32 v78, v80, v78
	v_dual_sub_f32 v99, v58, v54 :: v_dual_sub_f32 v188, v41, v40
	v_dual_sub_f32 v57, v49, v57 :: v_dual_add_f32 v68, v68, v84
	v_dual_sub_f32 v58, v50, v58 :: v_dual_sub_f32 v53, v53, v49
	v_add_f32_e32 v48, v88, v48
	v_dual_sub_f32 v54, v54, v50 :: v_dual_add_f32 v101, v79, v77
	v_dual_sub_f32 v103, v79, v77 :: v_dual_mul_f32 v84, 0x3d64c772, v67
	v_dual_sub_f32 v77, v77, v81 :: v_dual_mul_f32 v88, 0xbf08b237, v91
	v_dual_add_f32 v141, v51, v41 :: v_dual_add_f32 v74, v74, v92
	v_dual_sub_f32 v187, v55, v59 :: v_dual_add_f32 v50, v97, v50
	v_add_f32_e32 v69, v69, v85
	v_dual_add_f32 v65, v89, v65 :: v_dual_add_f32 v80, v80, v100
	v_dual_mul_f32 v41, 0x3f4a47b2, v62 :: v_dual_mul_f32 v76, 0x3f4a47b2, v76
	v_mul_f32_e32 v62, 0x3f4a47b2, v63
	v_mul_f32_e32 v85, 0xbf08b237, v90
	v_dual_mul_f32 v89, 0x3f5ff5aa, v52 :: v_dual_add_f32 v46, v46, v74
	v_dual_sub_f32 v79, v81, v79 :: v_dual_mul_f32 v90, 0x3f5ff5aa, v64
	v_dual_sub_f32 v51, v40, v51 :: v_dual_mul_f32 v70, 0x3f4a47b2, v70
	;; [unrolled: 1-line block ×3, first 2 shown]
	v_sub_f32_e32 v59, v59, v61
	v_dual_mul_f32 v63, 0x3d64c772, v66 :: v_dual_add_f32 v44, v44, v68
	v_dual_add_f32 v75, v75, v93 :: v_dual_mul_f32 v100, 0x3d64c772, v78
	v_add_f32_e32 v49, v96, v49
	v_mul_f32_e32 v71, 0x3f4a47b2, v71
	v_dual_mul_f32 v96, 0xbf08b237, v99 :: v_dual_add_f32 v81, v81, v101
	v_add_f32_e32 v99, v141, v40
	v_fmamk_f32 v67, v67, 0x3d64c772, v62
	v_fma_f32 v84, 0x3f3bfb3b, v87, -v84
	v_fma_f32 v62, 0xbf3bfb3b, v87, -v62
	v_add_f32_e32 v40, v42, v80
	v_dual_add_f32 v61, v142, v61 :: v_dual_mul_f32 v142, 0xbf08b237, v187
	v_fmamk_f32 v87, v56, 0x3eae86e6, v85
	v_fma_f32 v85, 0x3f5ff5aa, v52, -v85
	v_fma_f32 v52, 0x3f5ff5aa, v64, -v88
	;; [unrolled: 1-line block ×3, first 2 shown]
	v_dual_mul_f32 v91, 0x3d64c772, v72 :: v_dual_fmamk_f32 v66, v66, 0x3d64c772, v41
	v_mul_f32_e32 v93, 0xbf08b237, v98
	v_fma_f32 v63, 0x3f3bfb3b, v86, -v63
	v_fma_f32 v86, 0xbf3bfb3b, v86, -v41
	v_dual_add_f32 v47, v47, v75 :: v_dual_fmac_f32 v52, 0x3ee1c552, v65
	v_dual_fmamk_f32 v64, v72, 0x3d64c772, v70 :: v_dual_add_f32 v41, v43, v81
	v_fmac_f32_e32 v56, 0x3ee1c552, v48
	v_fmac_f32_e32 v87, 0x3ee1c552, v48
	;; [unrolled: 1-line block ×3, first 2 shown]
	v_fmamk_f32 v48, v74, 0xbf955555, v46
	v_dual_mul_f32 v97, 0x3f5ff5aa, v53 :: v_dual_mul_f32 v98, 0x3f5ff5aa, v54
	v_fmamk_f32 v72, v73, 0x3d64c772, v71
	v_fma_f32 v73, 0x3f3bfb3b, v94, -v91
	s_delay_alu instid0(VALU_DEP_4)
	v_add_f32_e32 v64, v64, v48
	v_fma_f32 v70, 0xbf3bfb3b, v94, -v70
	v_mul_f32_e32 v141, 0xbf08b237, v186
	v_mul_f32_e32 v186, 0x3f5ff5aa, v188
	v_fmamk_f32 v89, v57, 0x3eae86e6, v93
	v_fma_f32 v91, 0x3f5ff5aa, v53, -v93
	v_fma_f32 v93, 0xbeae86e6, v57, -v97
	v_dual_mul_f32 v101, 0x3d64c772, v79 :: v_dual_fmamk_f32 v42, v78, 0x3d64c772, v76
	v_fma_f32 v94, 0xbeae86e6, v58, -v98
	v_fma_f32 v57, 0xbf3bfb3b, v102, -v76
	;; [unrolled: 1-line block ×3, first 2 shown]
	v_fmac_f32_e32 v89, 0x3ee1c552, v49
	s_delay_alu instid0(VALU_DEP_4)
	v_dual_fmac_f32 v91, 0x3ee1c552, v49 :: v_dual_fmac_f32 v94, 0x3ee1c552, v50
	v_fmac_f32_e32 v93, 0x3ee1c552, v49
	v_fmamk_f32 v49, v80, 0xbf955555, v40
	v_mul_f32_e32 v187, 0x3f5ff5aa, v59
	v_fmamk_f32 v189, v60, 0x3eae86e6, v88
	v_fma_f32 v60, 0xbeae86e6, v60, -v90
	v_fma_f32 v88, 0x3f3bfb3b, v95, -v92
	v_fmamk_f32 v90, v58, 0x3eae86e6, v96
	v_fma_f32 v92, 0x3f5ff5aa, v54, -v96
	v_fma_f32 v96, 0x3f5ff5aa, v59, -v142
	v_fmamk_f32 v59, v75, 0xbf955555, v47
	v_dual_mul_f32 v77, 0x3f4a47b2, v77 :: v_dual_add_f32 v70, v70, v48
	v_dual_add_f32 v45, v45, v69 :: v_dual_fmamk_f32 v78, v51, 0x3eae86e6, v141
	v_fmamk_f32 v51, v68, 0xbf955555, v44
	v_fma_f32 v71, 0xbf3bfb3b, v95, -v71
	v_fma_f32 v95, 0x3f5ff5aa, v188, -v141
	v_fmac_f32_e32 v90, 0x3ee1c552, v50
	v_fmac_f32_e32 v92, 0x3ee1c552, v50
	v_dual_fmamk_f32 v50, v81, 0xbf955555, v41 :: v_dual_add_f32 v63, v63, v51
	v_dual_add_f32 v68, v72, v59 :: v_dual_fmamk_f32 v43, v79, 0x3d64c772, v77
	v_dual_fmamk_f32 v79, v55, 0x3eae86e6, v142 :: v_dual_add_f32 v80, v42, v49
	v_fma_f32 v98, 0xbeae86e6, v55, -v187
	v_fma_f32 v53, 0x3f3bfb3b, v102, -v100
	;; [unrolled: 1-line block ×4, first 2 shown]
	v_fmamk_f32 v55, v69, 0xbf955555, v45
	v_fmac_f32_e32 v79, 0x3ee1c552, v61
	v_dual_fmac_f32 v95, 0x3ee1c552, v99 :: v_dual_fmac_f32 v96, 0x3ee1c552, v61
	v_dual_fmac_f32 v97, 0x3ee1c552, v99 :: v_dual_fmac_f32 v98, 0x3ee1c552, v61
	v_dual_add_f32 v69, v73, v48 :: v_dual_sub_f32 v74, v70, v94
	v_add_f32_e32 v61, v66, v51
	v_dual_add_f32 v73, v88, v59 :: v_dual_add_f32 v88, v57, v49
	v_dual_fmac_f32 v189, 0x3ee1c552, v65 :: v_dual_fmac_f32 v78, 0x3ee1c552, v99
	v_fmac_f32_e32 v60, 0x3ee1c552, v65
	v_add_f32_e32 v66, v84, v55
	v_dual_add_f32 v84, v53, v49 :: v_dual_add_f32 v65, v67, v55
	v_dual_add_f32 v67, v86, v51 :: v_dual_sub_f32 v76, v64, v90
	v_dual_add_f32 v71, v71, v59 :: v_dual_add_f32 v86, v54, v50
	v_dual_add_f32 v99, v58, v50 :: v_dual_add_f32 v42, v189, v61
	;; [unrolled: 1-line block ×3, first 2 shown]
	v_add_f32_e32 v72, v92, v69
	v_dual_sub_f32 v50, v63, v52 :: v_dual_add_f32 v55, v62, v55
	v_add_f32_e32 v100, v79, v80
	v_dual_add_f32 v48, v60, v67 :: v_dual_add_f32 v51, v85, v66
	v_dual_sub_f32 v53, v66, v85 :: v_dual_sub_f32 v54, v67, v60
	v_dual_sub_f32 v59, v68, v89 :: v_dual_add_f32 v60, v94, v70
	v_dual_sub_f32 v43, v65, v87 :: v_dual_sub_f32 v70, v88, v98
	v_dual_add_f32 v57, v87, v65 :: v_dual_sub_f32 v62, v69, v92
	v_add_f32_e32 v77, v89, v68
	v_dual_add_f32 v64, v98, v88 :: v_dual_sub_f32 v65, v99, v97
	v_dual_sub_f32 v66, v84, v96 :: v_dual_add_f32 v75, v93, v71
	v_dual_add_f32 v67, v95, v86 :: v_dual_add_f32 v68, v96, v84
	v_dual_sub_f32 v49, v55, v56 :: v_dual_add_f32 v142, v78, v81
	v_dual_add_f32 v55, v56, v55 :: v_dual_sub_f32 v56, v61, v189
	v_sub_f32_e32 v61, v71, v93
	v_sub_f32_e32 v101, v81, v78
	;; [unrolled: 1-line block ×3, first 2 shown]
	v_add_f32_e32 v71, v97, v99
	v_sub_f32_e32 v141, v80, v79
	v_dual_add_f32 v52, v52, v63 :: v_dual_add_f32 v63, v91, v73
	v_sub_f32_e32 v73, v73, v91
	ds_store_2addr_b64 v185, v[44:45], v[42:43] offset1:48
	ds_store_2addr_b64 v185, v[48:49], v[50:51] offset0:96 offset1:144
	ds_store_2addr_b64 v185, v[52:53], v[54:55] offset0:192 offset1:240
	ds_store_b64 v185, v[56:57] offset:2304
	ds_store_2addr_b64 v184, v[46:47], v[58:59] offset1:48
	ds_store_2addr_b64 v184, v[60:61], v[62:63] offset0:96 offset1:144
	ds_store_2addr_b64 v184, v[72:73], v[74:75] offset0:192 offset1:240
	ds_store_b64 v184, v[76:77] offset:2304
	s_and_saveexec_b32 s1, s0
	s_cbranch_execz .LBB0_23
; %bb.22:
	v_lshlrev_b32_e32 v42, 3, v183
	s_delay_alu instid0(VALU_DEP_1)
	v_add_nc_u32_e32 v43, 0x2800, v42
	v_add_nc_u32_e32 v44, 0x3000, v42
	ds_store_2addr_b64 v43, v[40:41], v[100:101] offset0:64 offset1:112
	ds_store_2addr_b64 v43, v[64:65], v[66:67] offset0:160 offset1:208
	ds_store_2addr_b64 v44, v[68:69], v[70:71] offset1:48
	ds_store_b64 v42, v[141:142] offset:13056
.LBB0_23:
	s_wait_alu 0xfffe
	s_or_b32 exec_lo, exec_lo, s1
	v_lshlrev_b32_e32 v40, 5, v144
	v_lshlrev_b32_e32 v41, 5, v83
	global_wb scope:SCOPE_SE
	s_wait_dscnt 0x0
	s_barrier_signal -1
	s_barrier_wait -1
	global_inv scope:SCOPE_SE
	s_clause 0x2
	global_load_b128 v[44:47], v40, s[2:3] offset:2672
	global_load_b128 v[60:63], v40, s[2:3] offset:2688
	;; [unrolled: 1-line block ×3, first 2 shown]
	v_lshlrev_b32_e32 v40, 5, v82
	s_clause 0x2
	global_load_b128 v[56:59], v41, s[2:3] offset:2688
	global_load_b128 v[52:55], v40, s[2:3] offset:2672
	;; [unrolled: 1-line block ×3, first 2 shown]
	v_add_nc_u32_e32 v76, 0x400, v143
	v_add_nc_u32_e32 v72, 0x1400, v143
	;; [unrolled: 1-line block ×6, first 2 shown]
	ds_load_2addr_b64 v[78:81], v76 offset0:96 offset1:208
	ds_load_2addr_b64 v[85:88], v72 offset0:32 offset1:144
	ds_load_2addr_b64 v[89:92], v73 offset0:128 offset1:240
	ds_load_2addr_b64 v[93:96], v84 offset0:64 offset1:176
	ds_load_2addr_b64 v[186:189], v77 offset0:64 offset1:176
	ds_load_2addr_b64 v[190:193], v74 offset0:96 offset1:208
	ds_load_2addr_b64 v[194:197], v143 offset1:112
	ds_load_b64 v[82:83], v143 offset:12544
	s_add_nc_u64 s[2:3], s[16:17], 0x3480
	s_wait_loadcnt_dscnt 0x405
	v_mul_f32_e32 v102, v92, v61
	v_mul_f32_e32 v75, v81, v45
	v_dual_mul_f32 v97, v80, v45 :: v_dual_mul_f32 v98, v86, v47
	s_wait_loadcnt_dscnt 0x202
	v_dual_mul_f32 v99, v85, v47 :: v_dual_mul_f32 v204, v191, v57
	v_dual_mul_f32 v198, v91, v61 :: v_dual_mul_f32 v103, v94, v63
	s_wait_loadcnt 0x1
	v_mul_f32_e32 v208, v189, v53
	s_delay_alu instid0(VALU_DEP_3) | instskip(NEXT) | instid1(VALU_DEP_3)
	v_dual_mul_f32 v202, v88, v51 :: v_dual_fmac_f32 v99, v86, v46
	v_dual_mul_f32 v199, v93, v63 :: v_dual_fmac_f32 v198, v92, v60
	v_mul_f32_e32 v200, v187, v49
	v_mul_f32_e32 v201, v186, v49
	s_wait_loadcnt 0x0
	v_dual_mul_f32 v203, v87, v51 :: v_dual_mul_f32 v212, v193, v41
	v_dual_mul_f32 v205, v190, v57 :: v_dual_mul_f32 v206, v96, v59
	v_fmac_f32_e32 v199, v94, v62
	v_dual_mul_f32 v209, v188, v53 :: v_dual_mul_f32 v210, v90, v55
	v_fmac_f32_e32 v201, v187, v48
	v_mul_f32_e32 v211, v89, v55
	s_wait_dscnt 0x0
	v_dual_mul_f32 v213, v192, v41 :: v_dual_mul_f32 v214, v83, v43
	v_fmac_f32_e32 v203, v88, v50
	v_fma_f32 v75, v80, v44, -v75
	v_fmac_f32_e32 v97, v81, v44
	v_fma_f32 v80, v85, v46, -v98
	v_mul_f32_e32 v215, v82, v43
	v_fma_f32 v91, v91, v60, -v102
	v_fma_f32 v216, v93, v62, -v103
	;; [unrolled: 1-line block ×3, first 2 shown]
	v_sub_f32_e32 v88, v75, v80
	v_fma_f32 v92, v190, v56, -v204
	v_mul_f32_e32 v207, v95, v59
	v_fma_f32 v81, v186, v48, -v200
	v_fmac_f32_e32 v205, v191, v56
	v_fma_f32 v190, v95, v58, -v206
	v_fma_f32 v86, v188, v52, -v208
	v_fmac_f32_e32 v209, v189, v52
	v_fma_f32 v87, v89, v54, -v210
	v_fma_f32 v95, v192, v40, -v212
	v_dual_fmac_f32 v213, v193, v40 :: v_dual_add_f32 v98, v99, v198
	v_fma_f32 v191, v82, v42, -v214
	v_dual_fmac_f32 v215, v83, v42 :: v_dual_sub_f32 v102, v97, v99
	v_add_f32_e32 v82, v194, v75
	v_dual_add_f32 v83, v80, v91 :: v_dual_sub_f32 v204, v203, v205
	v_sub_f32_e32 v188, v99, v198
	v_dual_fmac_f32 v211, v90, v54 :: v_dual_sub_f32 v94, v91, v216
	v_dual_sub_f32 v89, v216, v91 :: v_dual_sub_f32 v206, v81, v85
	v_add_f32_e32 v90, v75, v216
	v_dual_add_f32 v200, v85, v92 :: v_dual_fmac_f32 v207, v96, v58
	v_dual_add_f32 v96, v195, v97 :: v_dual_sub_f32 v93, v80, v75
	v_dual_add_f32 v210, v81, v190 :: v_dual_sub_f32 v75, v75, v216
	v_add_f32_e32 v186, v97, v199
	v_dual_sub_f32 v187, v97, v199 :: v_dual_sub_f32 v208, v190, v92
	v_dual_sub_f32 v189, v80, v91 :: v_dual_sub_f32 v212, v85, v81
	;; [unrolled: 1-line block ×4, first 2 shown]
	v_dual_add_f32 v193, v196, v81 :: v_dual_sub_f32 v220, v85, v92
	v_dual_sub_f32 v214, v92, v190 :: v_dual_add_f32 v217, v197, v201
	v_dual_add_f32 v218, v203, v205 :: v_dual_sub_f32 v219, v81, v190
	v_dual_sub_f32 v221, v201, v203 :: v_dual_sub_f32 v222, v207, v205
	v_dual_add_f32 v223, v201, v207 :: v_dual_sub_f32 v228, v211, v213
	v_dual_sub_f32 v201, v203, v201 :: v_dual_sub_f32 v224, v205, v207
	v_dual_add_f32 v225, v78, v86 :: v_dual_add_f32 v226, v87, v95
	v_dual_sub_f32 v229, v86, v87 :: v_dual_add_f32 v234, v79, v209
	v_dual_sub_f32 v230, v191, v95 :: v_dual_add_f32 v243, v88, v89
	v_add_f32_e32 v231, v86, v191
	v_dual_sub_f32 v233, v95, v191 :: v_dual_add_f32 v242, v82, v80
	v_dual_add_f32 v235, v211, v213 :: v_dual_sub_f32 v236, v86, v191
	v_add_f32_e32 v240, v209, v215
	v_fma_f32 v80, -0.5, v83, v194
	v_fma_f32 v82, -0.5, v90, v194
	v_add_f32_e32 v88, v96, v99
	v_fma_f32 v81, -0.5, v98, v195
	v_dual_sub_f32 v227, v209, v215 :: v_dual_sub_f32 v232, v87, v86
	v_dual_sub_f32 v238, v209, v211 :: v_dual_sub_f32 v239, v215, v213
	v_sub_f32_e32 v209, v211, v209
	v_sub_f32_e32 v241, v213, v215
	v_fma_f32 v83, -0.5, v186, v195
	v_dual_sub_f32 v237, v87, v95 :: v_dual_add_f32 v192, v97, v192
	v_dual_add_f32 v194, v93, v94 :: v_dual_add_f32 v99, v102, v103
	v_add_f32_e32 v93, v193, v85
	v_fma_f32 v85, -0.5, v200, v196
	v_dual_add_f32 v200, v221, v222 :: v_dual_add_f32 v193, v206, v208
	v_add_f32_e32 v94, v217, v203
	v_fma_f32 v196, -0.5, v210, v196
	v_dual_add_f32 v195, v212, v214 :: v_dual_add_f32 v96, v225, v87
	v_fma_f32 v86, -0.5, v218, v197
	v_fmac_f32_e32 v197, -0.5, v223
	v_dual_add_f32 v201, v201, v224 :: v_dual_add_f32 v98, v234, v211
	v_fma_f32 v102, -0.5, v226, v78
	v_fma_f32 v78, -0.5, v231, v78
	;; [unrolled: 1-line block ×3, first 2 shown]
	v_dual_fmac_f32 v79, -0.5, v240 :: v_dual_add_f32 v186, v242, v91
	v_dual_fmamk_f32 v87, v187, 0x3f737871, v80 :: v_dual_add_f32 v198, v88, v198
	v_dual_fmamk_f32 v89, v188, 0xbf737871, v82 :: v_dual_fmamk_f32 v88, v75, 0xbf737871, v81
	v_add_f32_e32 v206, v232, v233
	v_dual_add_f32 v209, v209, v241 :: v_dual_fmac_f32 v80, 0xbf737871, v187
	v_dual_fmac_f32 v81, 0x3f737871, v75 :: v_dual_add_f32 v210, v93, v92
	v_dual_fmamk_f32 v90, v189, 0x3f737871, v83 :: v_dual_add_f32 v205, v94, v205
	v_fmac_f32_e32 v82, 0x3f737871, v188
	v_dual_fmac_f32 v83, 0xbf737871, v189 :: v_dual_fmamk_f32 v92, v219, 0xbf737871, v86
	v_fmamk_f32 v91, v202, 0x3f737871, v85
	v_fmac_f32_e32 v85, 0xbf737871, v202
	v_dual_fmamk_f32 v93, v204, 0xbf737871, v196 :: v_dual_add_f32 v212, v98, v213
	v_fmac_f32_e32 v196, 0x3f737871, v204
	v_fmac_f32_e32 v86, 0x3f737871, v219
	v_fmamk_f32 v94, v220, 0x3f737871, v197
	v_fmac_f32_e32 v197, 0xbf737871, v220
	v_add_f32_e32 v211, v96, v95
	v_fmamk_f32 v95, v227, 0x3f737871, v102
	v_fmac_f32_e32 v102, 0xbf737871, v227
	v_dual_fmamk_f32 v97, v228, 0xbf737871, v78 :: v_dual_add_f32 v186, v186, v216
	v_fmac_f32_e32 v78, 0x3f737871, v228
	v_fmamk_f32 v96, v236, 0xbf737871, v103
	v_fmac_f32_e32 v103, 0x3f737871, v236
	v_fmamk_f32 v98, v237, 0x3f737871, v79
	v_fmac_f32_e32 v79, 0xbf737871, v237
	v_fmac_f32_e32 v87, 0x3f167918, v188
	;; [unrolled: 1-line block ×4, first 2 shown]
	v_dual_fmac_f32 v89, 0x3f167918, v187 :: v_dual_fmac_f32 v86, 0x3f167918, v220
	v_fmac_f32_e32 v81, 0x3f167918, v189
	v_fmac_f32_e32 v90, 0xbf167918, v75
	v_dual_fmac_f32 v82, 0xbf167918, v187 :: v_dual_fmac_f32 v85, 0xbf167918, v204
	v_fmac_f32_e32 v83, 0x3f167918, v75
	v_dual_add_f32 v203, v229, v230 :: v_dual_add_f32 v208, v238, v239
	v_add_f32_e32 v187, v198, v199
	v_dual_add_f32 v188, v210, v190 :: v_dual_fmac_f32 v91, 0x3f167918, v204
	v_fmac_f32_e32 v93, 0x3f167918, v202
	v_fmac_f32_e32 v196, 0xbf167918, v202
	;; [unrolled: 1-line block ×5, first 2 shown]
	v_dual_add_f32 v190, v211, v191 :: v_dual_fmac_f32 v95, 0x3f167918, v228
	v_fmac_f32_e32 v102, 0xbf167918, v228
	v_fmac_f32_e32 v97, 0x3f167918, v227
	;; [unrolled: 1-line block ×3, first 2 shown]
	v_dual_add_f32 v191, v212, v215 :: v_dual_fmac_f32 v96, 0xbf167918, v237
	v_fmac_f32_e32 v103, 0x3f167918, v237
	v_fmac_f32_e32 v98, 0xbf167918, v236
	;; [unrolled: 1-line block ×3, first 2 shown]
	v_dual_fmac_f32 v87, 0x3e9e377a, v243 :: v_dual_fmac_f32 v82, 0x3e9e377a, v194
	v_dual_fmac_f32 v88, 0x3e9e377a, v99 :: v_dual_fmac_f32 v83, 0x3e9e377a, v192
	v_add_f32_e32 v189, v205, v207
	v_dual_fmac_f32 v80, 0x3e9e377a, v243 :: v_dual_fmac_f32 v89, 0x3e9e377a, v194
	v_dual_fmac_f32 v81, 0x3e9e377a, v99 :: v_dual_fmac_f32 v90, 0x3e9e377a, v192
	;; [unrolled: 1-line block ×9, first 2 shown]
	v_fmac_f32_e32 v98, 0x3e9e377a, v209
	v_fmac_f32_e32 v79, 0x3e9e377a, v209
	ds_store_b64 v143, v[87:88] offset:2688
	ds_store_b64 v143, v[89:90] offset:5376
	;; [unrolled: 1-line block ×4, first 2 shown]
	ds_store_2addr_b64 v143, v[186:187], v[188:189] offset1:112
	ds_store_b64 v143, v[196:197] offset:8960
	ds_store_b64 v143, v[85:86] offset:11648
	;; [unrolled: 1-line block ×4, first 2 shown]
	ds_store_2addr_b64 v77, v[91:92], v[95:96] offset0:64 offset1:176
	ds_store_b64 v143, v[97:98] offset:7168
	ds_store_b64 v143, v[78:79] offset:9856
	;; [unrolled: 1-line block ×3, first 2 shown]
	global_wb scope:SCOPE_SE
	s_wait_dscnt 0x0
	s_barrier_signal -1
	s_barrier_wait -1
	global_inv scope:SCOPE_SE
	s_clause 0xd
	global_load_b64 v[82:83], v[104:105], off offset:13440
	global_load_b64 v[97:98], v143, s[2:3] offset:896
	global_load_b64 v[198:199], v143, s[2:3] offset:6720
	;; [unrolled: 1-line block ×13, first 2 shown]
	ds_load_2addr_b64 v[78:81], v143 offset1:112
	v_add_nc_u32_e32 v99, 0x800, v143
	s_wait_loadcnt_dscnt 0xd00
	v_mul_f32_e32 v75, v79, v83
	s_wait_loadcnt 0xc
	v_dual_mul_f32 v86, v78, v83 :: v_dual_mul_f32 v83, v80, v98
	s_delay_alu instid0(VALU_DEP_2) | instskip(NEXT) | instid1(VALU_DEP_2)
	v_fma_f32 v85, v78, v82, -v75
	v_dual_fmac_f32 v86, v79, v82 :: v_dual_add_nc_u32 v79, 0x1c00, v143
	v_dual_mul_f32 v75, v81, v98 :: v_dual_add_nc_u32 v78, 0x2400, v143
	s_delay_alu instid0(VALU_DEP_4)
	v_fmac_f32_e32 v83, v81, v97
	ds_store_b64 v143, v[85:86]
	ds_load_2addr_b64 v[85:88], v72 offset0:32 offset1:200
	ds_load_2addr_b64 v[89:92], v79 offset0:56 offset1:168
	;; [unrolled: 1-line block ×6, first 2 shown]
	v_fma_f32 v82, v80, v97, -v75
	v_add_nc_u32_e32 v222, 0x1000, v143
	s_wait_loadcnt_dscnt 0xb05
	v_mul_f32_e32 v75, v88, v199
	v_mul_f32_e32 v81, v87, v199
	s_wait_loadcnt_dscnt 0xa04
	v_mul_f32_e32 v97, v90, v201
	s_wait_loadcnt_dscnt 0x903
	v_dual_mul_f32 v98, v89, v201 :: v_dual_mul_f32 v223, v94, v203
	s_wait_loadcnt 0x8
	v_dual_mul_f32 v199, v93, v203 :: v_dual_mul_f32 v224, v92, v205
	v_mul_f32_e32 v201, v91, v205
	s_wait_loadcnt_dscnt 0x602
	v_mul_f32_e32 v226, v187, v209
	v_mul_f32_e32 v205, v186, v209
	s_wait_loadcnt 0x4
	v_mul_f32_e32 v209, v188, v213
	v_mul_f32_e32 v225, v96, v207
	;; [unrolled: 1-line block ×3, first 2 shown]
	s_wait_dscnt 0x1
	v_mul_f32_e32 v227, v191, v211
	v_dual_mul_f32 v207, v190, v211 :: v_dual_mul_f32 v228, v189, v213
	s_wait_loadcnt_dscnt 0x200
	v_mul_f32_e32 v230, v195, v217
	v_mul_f32_e32 v213, v194, v217
	;; [unrolled: 1-line block ×4, first 2 shown]
	s_wait_loadcnt 0x1
	v_mul_f32_e32 v231, v86, v219
	v_mul_f32_e32 v215, v85, v219
	s_wait_loadcnt 0x0
	v_mul_f32_e32 v219, v197, v221
	v_mul_f32_e32 v217, v196, v221
	v_fma_f32 v80, v87, v198, -v75
	v_fmac_f32_e32 v81, v88, v198
	v_fma_f32 v97, v89, v200, -v97
	v_fmac_f32_e32 v98, v90, v200
	;; [unrolled: 2-line block ×12, first 2 shown]
	ds_store_2addr_b64 v73, v[80:81], v[97:98] offset0:72 offset1:184
	ds_store_2addr_b64 v143, v[82:83], v[198:199] offset0:112 offset1:224
	;; [unrolled: 1-line block ×6, first 2 shown]
	ds_store_b64 v143, v[216:217] offset:12096
	s_and_saveexec_b32 s1, vcc_lo
	s_cbranch_execz .LBB0_25
; %bb.24:
	s_wait_alu 0xfffe
	v_add_co_u32 v73, s2, s2, v143
	s_wait_alu 0xf1ff
	v_add_co_ci_u32_e64 v74, null, s3, 0, s2
	s_clause 0x1
	global_load_b64 v[80:81], v[73:74], off offset:6272
	global_load_b64 v[73:74], v[73:74], off offset:12992
	ds_load_b64 v[82:83], v143 offset:6272
	ds_load_b64 v[85:86], v143 offset:12992
	s_wait_loadcnt_dscnt 0x0
	v_dual_mul_f32 v87, v83, v81 :: v_dual_mul_f32 v88, v86, v74
	v_mul_f32_e32 v75, v82, v81
	v_mul_f32_e32 v81, v85, v74
	s_delay_alu instid0(VALU_DEP_3) | instskip(NEXT) | instid1(VALU_DEP_3)
	v_fma_f32 v74, v82, v80, -v87
	v_fmac_f32_e32 v75, v83, v80
	v_fma_f32 v80, v85, v73, -v88
	s_delay_alu instid0(VALU_DEP_4)
	v_fmac_f32_e32 v81, v86, v73
	ds_store_b64 v143, v[74:75] offset:6272
	ds_store_b64 v143, v[80:81] offset:12992
.LBB0_25:
	s_wait_alu 0xfffe
	s_or_b32 exec_lo, exec_lo, s1
	global_wb scope:SCOPE_SE
	s_wait_dscnt 0x0
	s_barrier_signal -1
	s_barrier_wait -1
	global_inv scope:SCOPE_SE
	ds_load_2addr_b64 v[88:91], v143 offset1:112
	ds_load_2addr_b64 v[72:75], v72 offset0:32 offset1:200
	ds_load_2addr_b64 v[96:99], v79 offset0:56 offset1:168
	ds_load_2addr_b64 v[80:83], v76 offset0:96 offset1:208
	ds_load_2addr_b64 v[92:95], v78 offset0:24 offset1:136
	ds_load_2addr_b64 v[76:79], v77 offset0:64 offset1:176
	ds_load_2addr_b64 v[84:87], v84 offset0:120 offset1:232
	v_lshlrev_b32_e32 v186, 3, v168
	v_lshlrev_b32_e32 v168, 3, v170
	s_and_saveexec_b32 s1, vcc_lo
	s_cbranch_execz .LBB0_27
; %bb.26:
	ds_load_b64 v[102:103], v143 offset:6272
	ds_load_b64 v[100:101], v143 offset:12992
.LBB0_27:
	s_wait_alu 0xfffe
	s_or_b32 exec_lo, exec_lo, s1
	s_wait_dscnt 0x4
	v_dual_sub_f32 v193, v90, v96 :: v_dual_sub_f32 v194, v91, v97
	s_wait_dscnt 0x3
	v_dual_sub_f32 v98, v80, v98 :: v_dual_sub_f32 v99, v81, v99
	v_dual_sub_f32 v189, v88, v74 :: v_dual_sub_f32 v190, v89, v75
	s_delay_alu instid0(VALU_DEP_3) | instskip(SKIP_1) | instid1(VALU_DEP_4)
	v_fma_f32 v191, v90, 2.0, -v193
	v_fma_f32 v192, v91, 2.0, -v194
	;; [unrolled: 1-line block ×3, first 2 shown]
	s_wait_dscnt 0x2
	v_dual_sub_f32 v90, v82, v92 :: v_dual_sub_f32 v91, v83, v93
	v_fma_f32 v97, v81, 2.0, -v99
	s_wait_dscnt 0x0
	v_dual_sub_f32 v80, v78, v84 :: v_dual_sub_f32 v81, v79, v85
	v_dual_sub_f32 v84, v72, v86 :: v_dual_sub_f32 v85, v73, v87
	;; [unrolled: 1-line block ×4, first 2 shown]
	v_fma_f32 v187, v88, 2.0, -v189
	v_fma_f32 v188, v89, 2.0, -v190
	;; [unrolled: 1-line block ×12, first 2 shown]
	global_wb scope:SCOPE_SE
	s_barrier_signal -1
	s_barrier_wait -1
	global_inv scope:SCOPE_SE
	ds_store_b128 v148, v[187:190]
	ds_store_b128 v149, v[191:194]
	;; [unrolled: 1-line block ×7, first 2 shown]
	s_and_saveexec_b32 s1, vcc_lo
	s_cbranch_execz .LBB0_29
; %bb.28:
	ds_store_b128 v152, v[72:75]
.LBB0_29:
	s_wait_alu 0xfffe
	s_or_b32 exec_lo, exec_lo, s1
	v_add_nc_u32_e32 v80, 0x1c00, v143
	v_add_nc_u32_e32 v76, 0x1400, v143
	;; [unrolled: 1-line block ×6, first 2 shown]
	global_wb scope:SCOPE_SE
	s_wait_dscnt 0x0
	s_barrier_signal -1
	s_barrier_wait -1
	global_inv scope:SCOPE_SE
	ds_load_2addr_b64 v[84:87], v143 offset1:112
	ds_load_2addr_b64 v[76:79], v76 offset0:32 offset1:200
	ds_load_2addr_b64 v[100:103], v80 offset0:56 offset1:168
	;; [unrolled: 1-line block ×6, first 2 shown]
	s_and_saveexec_b32 s1, vcc_lo
	s_cbranch_execz .LBB0_31
; %bb.30:
	ds_load_b64 v[72:73], v143 offset:6272
	ds_load_b64 v[74:75], v143 offset:12992
.LBB0_31:
	s_wait_alu 0xfffe
	s_or_b32 exec_lo, exec_lo, s1
	s_wait_dscnt 0x5
	v_mul_f32_e32 v148, v136, v79
	s_wait_dscnt 0x4
	v_mul_f32_e32 v151, v136, v100
	v_mul_f32_e32 v150, v136, v101
	global_wb scope:SCOPE_SE
	s_wait_dscnt 0x0
	s_barrier_signal -1
	s_barrier_wait -1
	v_fma_f32 v101, v135, v101, -v151
	v_mul_f32_e32 v151, v136, v93
	global_inv scope:SCOPE_SE
	v_fmac_f32_e32 v151, v135, v92
	v_dual_mul_f32 v149, v136, v78 :: v_dual_fmac_f32 v150, v135, v100
	v_mul_f32_e32 v100, v136, v97
	s_delay_alu instid0(VALU_DEP_2) | instskip(NEXT) | instid1(VALU_DEP_2)
	v_fma_f32 v79, v135, v79, -v149
	v_dual_mul_f32 v149, v136, v103 :: v_dual_fmac_f32 v100, v135, v96
	s_delay_alu instid0(VALU_DEP_2) | instskip(NEXT) | instid1(VALU_DEP_2)
	v_sub_f32_e32 v79, v85, v79
	v_fmac_f32_e32 v149, v135, v102
	v_fmac_f32_e32 v148, v135, v78
	v_mul_f32_e32 v78, v136, v102
	s_delay_alu instid0(VALU_DEP_1) | instskip(SKIP_3) | instid1(VALU_DEP_3)
	v_fma_f32 v102, v135, v103, -v78
	v_mul_f32_e32 v78, v136, v96
	v_mul_f32_e32 v96, v136, v99
	;; [unrolled: 1-line block ×3, first 2 shown]
	v_fma_f32 v97, v135, v97, -v78
	v_mul_f32_e32 v78, v136, v92
	s_delay_alu instid0(VALU_DEP_4) | instskip(NEXT) | instid1(VALU_DEP_4)
	v_fmac_f32_e32 v96, v135, v98
	v_fma_f32 v98, v135, v99, -v103
	v_mul_f32_e32 v152, v136, v75
	v_mul_f32_e32 v103, v136, v95
	v_fma_f32 v99, v135, v93, -v78
	v_mul_f32_e32 v92, v136, v94
	v_mul_f32_e32 v93, v136, v74
	v_sub_f32_e32 v78, v84, v148
	s_delay_alu instid0(VALU_DEP_4) | instskip(NEXT) | instid1(VALU_DEP_4)
	v_dual_sub_f32 v96, v80, v96 :: v_dual_sub_f32 v99, v83, v99
	v_fma_f32 v136, v135, v95, -v92
	v_sub_f32_e32 v95, v91, v97
	v_dual_sub_f32 v97, v81, v98 :: v_dual_sub_f32 v98, v82, v151
	v_fmac_f32_e32 v152, v135, v74
	v_fmac_f32_e32 v103, v135, v94
	v_fma_f32 v148, v135, v75, -v93
	v_fma_f32 v74, v84, 2.0, -v78
	v_sub_f32_e32 v92, v86, v150
	v_sub_f32_e32 v84, v88, v149
	v_fma_f32 v75, v85, 2.0, -v79
	v_sub_f32_e32 v85, v89, v102
	v_sub_f32_e32 v135, v76, v103
	;; [unrolled: 1-line block ×3, first 2 shown]
	v_dual_sub_f32 v102, v72, v152 :: v_dual_sub_f32 v93, v87, v101
	v_sub_f32_e32 v94, v90, v100
	v_sub_f32_e32 v136, v77, v136
	s_delay_alu instid0(VALU_DEP_4) | instskip(NEXT) | instid1(VALU_DEP_4)
	v_fma_f32 v101, v73, 2.0, -v103
	v_fma_f32 v100, v72, 2.0, -v102
	;; [unrolled: 1-line block ×14, first 2 shown]
	ds_store_2addr_b64 v161, v[74:75], v[78:79] offset1:2
	ds_store_2addr_b64 v160, v[86:87], v[92:93] offset1:2
	;; [unrolled: 1-line block ×7, first 2 shown]
	s_and_saveexec_b32 s1, vcc_lo
	s_cbranch_execz .LBB0_33
; %bb.32:
	v_and_or_b32 v72, 0x6fc, v145, v146
	s_delay_alu instid0(VALU_DEP_1)
	v_lshlrev_b32_e32 v72, 3, v72
	ds_store_2addr_b64 v72, v[100:101], v[102:103] offset1:2
.LBB0_33:
	s_wait_alu 0xfffe
	s_or_b32 exec_lo, exec_lo, s1
	v_add_nc_u32_e32 v76, 0x1c00, v143
	v_add_nc_u32_e32 v72, 0x1400, v143
	;; [unrolled: 1-line block ×6, first 2 shown]
	global_wb scope:SCOPE_SE
	s_wait_dscnt 0x0
	s_barrier_signal -1
	s_barrier_wait -1
	global_inv scope:SCOPE_SE
	ds_load_2addr_b64 v[80:83], v143 offset1:112
	ds_load_2addr_b64 v[72:75], v72 offset0:32 offset1:200
	ds_load_2addr_b64 v[96:99], v76 offset0:56 offset1:168
	;; [unrolled: 1-line block ×6, first 2 shown]
	s_and_saveexec_b32 s1, vcc_lo
	s_cbranch_execz .LBB0_35
; %bb.34:
	ds_load_b64 v[100:101], v143 offset:6272
	ds_load_b64 v[102:103], v143 offset:12992
.LBB0_35:
	s_wait_alu 0xfffe
	s_or_b32 exec_lo, exec_lo, s1
	s_wait_dscnt 0x5
	v_mul_f32_e32 v136, v138, v74
	s_wait_dscnt 0x4
	v_mul_f32_e32 v146, v138, v97
	v_mul_f32_e32 v135, v138, v75
	s_wait_dscnt 0x0
	v_mul_f32_e32 v149, v138, v91
	global_wb scope:SCOPE_SE
	v_fma_f32 v75, v137, v75, -v136
	v_mul_f32_e32 v136, v138, v99
	v_fmac_f32_e32 v146, v137, v96
	v_fmac_f32_e32 v149, v137, v90
	;; [unrolled: 1-line block ×3, first 2 shown]
	v_mul_f32_e32 v74, v138, v98
	v_dual_fmac_f32 v136, v137, v98 :: v_dual_mul_f32 v151, v138, v103
	v_sub_f32_e32 v75, v81, v75
	s_barrier_signal -1
	s_delay_alu instid0(VALU_DEP_3) | instskip(SKIP_4) | instid1(VALU_DEP_4)
	v_fma_f32 v98, v137, v99, -v74
	v_mul_f32_e32 v74, v138, v92
	v_mul_f32_e32 v99, v138, v95
	v_mul_f32_e32 v148, v138, v96
	v_dual_mul_f32 v96, v138, v93 :: v_dual_fmac_f32 v151, v137, v102
	v_fma_f32 v93, v137, v93, -v74
	s_delay_alu instid0(VALU_DEP_4) | instskip(NEXT) | instid1(VALU_DEP_3)
	v_dual_mul_f32 v74, v138, v88 :: v_dual_fmac_f32 v99, v137, v94
	v_fmac_f32_e32 v96, v137, v92
	s_delay_alu instid0(VALU_DEP_3) | instskip(SKIP_1) | instid1(VALU_DEP_4)
	v_dual_mul_f32 v92, v138, v94 :: v_dual_sub_f32 v93, v87, v93
	v_fma_f32 v97, v137, v97, -v148
	v_fma_f32 v150, v137, v89, -v74
	v_sub_f32_e32 v74, v80, v135
	s_delay_alu instid0(VALU_DEP_4) | instskip(SKIP_2) | instid1(VALU_DEP_3)
	v_fma_f32 v95, v137, v95, -v92
	v_mul_f32_e32 v148, v138, v89
	v_dual_mul_f32 v89, v138, v102 :: v_dual_sub_f32 v102, v100, v151
	v_dual_sub_f32 v92, v86, v96 :: v_dual_sub_f32 v95, v77, v95
	s_delay_alu instid0(VALU_DEP_3) | instskip(SKIP_1) | instid1(VALU_DEP_4)
	v_fmac_f32_e32 v148, v137, v88
	v_mul_f32_e32 v88, v138, v90
	v_fma_f32 v103, v137, v103, -v89
	v_dual_sub_f32 v89, v83, v97 :: v_dual_sub_f32 v90, v84, v136
	v_sub_f32_e32 v94, v76, v99
	s_delay_alu instid0(VALU_DEP_4) | instskip(NEXT) | instid1(VALU_DEP_4)
	v_fma_f32 v135, v137, v91, -v88
	v_dual_sub_f32 v88, v82, v146 :: v_dual_sub_f32 v103, v101, v103
	v_sub_f32_e32 v91, v85, v98
	v_fma_f32 v80, v80, 2.0, -v74
	v_fma_f32 v81, v81, 2.0, -v75
	v_dual_sub_f32 v96, v78, v148 :: v_dual_sub_f32 v97, v79, v150
	v_dual_sub_f32 v98, v72, v149 :: v_dual_sub_f32 v99, v73, v135
	v_fma_f32 v100, v100, 2.0, -v102
	v_fma_f32 v101, v101, 2.0, -v103
	;; [unrolled: 1-line block ×14, first 2 shown]
	s_barrier_wait -1
	global_inv scope:SCOPE_SE
	ds_store_2addr_b64 v169, v[80:81], v[74:75] offset1:4
	ds_store_2addr_b64 v167, v[82:83], v[88:89] offset1:4
	;; [unrolled: 1-line block ×7, first 2 shown]
	s_and_saveexec_b32 s1, vcc_lo
	s_cbranch_execz .LBB0_37
; %bb.36:
	v_and_or_b32 v72, 0x6f8, v145, v147
	s_delay_alu instid0(VALU_DEP_1)
	v_lshlrev_b32_e32 v72, 3, v72
	ds_store_2addr_b64 v72, v[100:101], v[102:103] offset1:4
.LBB0_37:
	s_wait_alu 0xfffe
	s_or_b32 exec_lo, exec_lo, s1
	v_add_nc_u32_e32 v80, 0x1c00, v143
	v_add_nc_u32_e32 v72, 0x1400, v143
	v_add_nc_u32_e32 v81, 0x400, v143
	v_add_nc_u32_e32 v82, 0x2400, v143
	v_add_nc_u32_e32 v83, 0xc00, v143
	v_add_nc_u32_e32 v88, 0x2800, v143
	global_wb scope:SCOPE_SE
	s_wait_dscnt 0x0
	s_barrier_signal -1
	s_barrier_wait -1
	global_inv scope:SCOPE_SE
	ds_load_2addr_b64 v[76:79], v143 offset1:112
	ds_load_2addr_b64 v[72:75], v72 offset0:32 offset1:200
	ds_load_2addr_b64 v[96:99], v80 offset0:56 offset1:168
	;; [unrolled: 1-line block ×6, first 2 shown]
	s_and_saveexec_b32 s1, vcc_lo
	s_cbranch_execz .LBB0_39
; %bb.38:
	ds_load_b64 v[100:101], v143 offset:6272
	ds_load_b64 v[102:103], v143 offset:12992
.LBB0_39:
	s_wait_alu 0xfffe
	s_or_b32 exec_lo, exec_lo, s1
	s_wait_dscnt 0x4
	v_mul_f32_e32 v146, v140, v99
	v_mul_f32_e32 v135, v140, v75
	;; [unrolled: 1-line block ×4, first 2 shown]
	s_wait_dscnt 0x0
	v_mul_f32_e32 v148, v140, v103
	v_fmac_f32_e32 v146, v139, v98
	v_dual_mul_f32 v138, v140, v96 :: v_dual_fmac_f32 v135, v139, v74
	v_fmac_f32_e32 v137, v139, v96
	v_fma_f32 v74, v139, v75, -v136
	v_dual_mul_f32 v147, v140, v91 :: v_dual_fmac_f32 v148, v139, v102
	s_delay_alu instid0(VALU_DEP_4) | instskip(SKIP_1) | instid1(VALU_DEP_3)
	v_fma_f32 v75, v139, v97, -v138
	v_mul_f32_e32 v96, v140, v98
	v_dual_mul_f32 v98, v140, v92 :: v_dual_fmac_f32 v147, v139, v90
	v_mul_f32_e32 v138, v140, v89
	v_mul_f32_e32 v97, v140, v93
	;; [unrolled: 1-line block ×3, first 2 shown]
	s_delay_alu instid0(VALU_DEP_4)
	v_fma_f32 v98, v139, v93, -v98
	global_wb scope:SCOPE_SE
	v_fmac_f32_e32 v138, v139, v88
	v_fmac_f32_e32 v97, v139, v92
	v_mul_f32_e32 v93, v140, v90
	v_mul_f32_e32 v92, v140, v88
	v_sub_f32_e32 v90, v78, v137
	s_barrier_signal -1
	s_barrier_wait -1
	v_fma_f32 v150, v139, v91, -v93
	v_mul_f32_e32 v91, v140, v102
	v_sub_f32_e32 v88, v76, v135
	v_sub_f32_e32 v102, v72, v147
	v_fma_f32 v78, v78, 2.0, -v90
	global_inv scope:SCOPE_SE
	v_fma_f32 v135, v139, v103, -v91
	v_sub_f32_e32 v103, v73, v150
	v_sub_f32_e32 v91, v79, v75
	v_fma_f32 v96, v139, v99, -v96
	v_mul_f32_e32 v99, v140, v94
	v_fma_f32 v76, v76, 2.0, -v88
	v_sub_f32_e32 v75, v101, v135
	v_fma_f32 v79, v79, 2.0, -v91
	v_sub_f32_e32 v93, v85, v96
	v_fma_f32 v99, v139, v95, -v99
	v_sub_f32_e32 v95, v87, v98
	v_fma_f32 v149, v139, v89, -v92
	v_sub_f32_e32 v89, v77, v74
	v_fmac_f32_e32 v136, v139, v94
	v_sub_f32_e32 v92, v84, v146
	v_dual_sub_f32 v94, v86, v97 :: v_dual_sub_f32 v97, v81, v99
	s_delay_alu instid0(VALU_DEP_4) | instskip(NEXT) | instid1(VALU_DEP_4)
	v_fma_f32 v77, v77, 2.0, -v89
	v_sub_f32_e32 v96, v80, v136
	v_dual_sub_f32 v98, v82, v138 :: v_dual_sub_f32 v99, v83, v149
	v_sub_f32_e32 v74, v100, v148
	v_fma_f32 v84, v84, 2.0, -v92
	v_fma_f32 v85, v85, 2.0, -v93
	;; [unrolled: 1-line block ×10, first 2 shown]
	ds_store_2addr_b64 v177, v[76:77], v[88:89] offset1:8
	ds_store_2addr_b64 v176, v[78:79], v[90:91] offset1:8
	;; [unrolled: 1-line block ×7, first 2 shown]
	s_and_saveexec_b32 s1, vcc_lo
	s_cbranch_execz .LBB0_41
; %bb.40:
	v_and_or_b32 v76, 0x6f0, v145, v154
	v_fma_f32 v73, v101, 2.0, -v75
	v_fma_f32 v72, v100, 2.0, -v74
	s_delay_alu instid0(VALU_DEP_3)
	v_lshlrev_b32_e32 v76, 3, v76
	ds_store_2addr_b64 v76, v[72:73], v[74:75] offset1:8
.LBB0_41:
	s_wait_alu 0xfffe
	s_or_b32 exec_lo, exec_lo, s1
	v_add_nc_u32_e32 v135, 0xc00, v143
	v_add_nc_u32_e32 v72, 0x2000, v143
	;; [unrolled: 1-line block ×3, first 2 shown]
	global_wb scope:SCOPE_SE
	s_wait_dscnt 0x0
	s_barrier_signal -1
	s_barrier_wait -1
	global_inv scope:SCOPE_SE
	ds_load_2addr_b64 v[76:79], v135 offset0:64 offset1:176
	ds_load_2addr_b64 v[80:83], v72 offset0:96 offset1:208
	;; [unrolled: 1-line block ×3, first 2 shown]
	v_add_nc_u32_e32 v137, 0x400, v143
	v_add_nc_u32_e32 v96, 0x2800, v143
	s_wait_dscnt 0x2
	v_dual_mul_f32 v139, v13, v78 :: v_dual_add_nc_u32 v100, 0x1800, v143
	s_wait_dscnt 0x0
	v_dual_mul_f32 v149, v15, v82 :: v_dual_mul_f32 v146, v13, v85
	v_mul_f32_e32 v147, v13, v84
	ds_load_2addr_b64 v[88:91], v143 offset1:112
	ds_load_b64 v[72:73], v143 offset:12544
	ds_load_2addr_b64 v[92:95], v137 offset0:96 offset1:208
	ds_load_2addr_b64 v[96:99], v96 offset0:64 offset1:176
	;; [unrolled: 1-line block ×3, first 2 shown]
	v_mul_f32_e32 v138, v13, v79
	v_mul_f32_e32 v140, v15, v81
	;; [unrolled: 1-line block ×4, first 2 shown]
	v_fmac_f32_e32 v146, v12, v84
	v_fmac_f32_e32 v138, v12, v78
	v_fma_f32 v78, v12, v79, -v139
	v_fmac_f32_e32 v140, v14, v80
	v_fma_f32 v79, v14, v81, -v145
	v_fma_f32 v80, v12, v85, -v147
	v_mul_f32_e32 v85, v13, v87
	v_mul_f32_e32 v81, v13, v86
	v_fmac_f32_e32 v148, v14, v82
	v_fma_f32 v82, v14, v83, -v149
	global_wb scope:SCOPE_SE
	s_wait_dscnt 0x0
	v_fmac_f32_e32 v85, v12, v86
	v_fma_f32 v86, v12, v87, -v81
	s_barrier_signal -1
	v_mul_f32_e32 v83, v15, v96
	v_mul_f32_e32 v139, v15, v97
	;; [unrolled: 1-line block ×3, first 2 shown]
	s_barrier_wait -1
	global_inv scope:SCOPE_SE
	v_fma_f32 v87, v14, v97, -v83
	v_dual_fmac_f32 v139, v14, v96 :: v_dual_mul_f32 v96, v15, v99
	v_mul_f32_e32 v81, v13, v100
	v_dual_fmac_f32 v145, v12, v100 :: v_dual_mul_f32 v100, v13, v103
	v_mul_f32_e32 v13, v13, v102
	v_mul_f32_e32 v83, v15, v98
	v_fmac_f32_e32 v96, v14, v98
	v_fma_f32 v97, v12, v101, -v81
	v_fmac_f32_e32 v100, v12, v102
	v_fma_f32 v101, v12, v103, -v13
	v_add_f32_e32 v12, v138, v140
	v_fma_f32 v98, v14, v99, -v83
	v_dual_sub_f32 v83, v80, v82 :: v_dual_sub_f32 v84, v146, v148
	s_delay_alu instid0(VALU_DEP_3) | instskip(SKIP_3) | instid1(VALU_DEP_2)
	v_fma_f32 v12, -0.5, v12, v88
	v_add_f32_e32 v13, v88, v138
	v_mul_f32_e32 v99, v15, v73
	v_dual_mul_f32 v15, v15, v72 :: v_dual_add_f32 v88, v86, v87
	v_fmac_f32_e32 v99, v14, v72
	s_delay_alu instid0(VALU_DEP_2) | instskip(SKIP_2) | instid1(VALU_DEP_1)
	v_fma_f32 v102, v14, v73, -v15
	v_add_f32_e32 v15, v78, v79
	v_dual_sub_f32 v73, v78, v79 :: v_dual_add_f32 v78, v89, v78
	v_fmamk_f32 v72, v73, 0xbf5db3d7, v12
	v_add_f32_e32 v14, v13, v140
	s_delay_alu instid0(VALU_DEP_4) | instskip(NEXT) | instid1(VALU_DEP_4)
	v_fma_f32 v13, -0.5, v15, v89
	v_add_f32_e32 v15, v78, v79
	v_add_f32_e32 v78, v146, v148
	;; [unrolled: 1-line block ×3, first 2 shown]
	v_dual_sub_f32 v89, v86, v87 :: v_dual_fmac_f32 v12, 0x3f5db3d7, v73
	s_delay_alu instid0(VALU_DEP_3) | instskip(SKIP_1) | instid1(VALU_DEP_4)
	v_fma_f32 v90, -0.5, v78, v90
	v_sub_f32_e32 v81, v138, v140
	v_add_f32_e32 v78, v79, v148
	v_add_f32_e32 v79, v91, v80
	s_delay_alu instid0(VALU_DEP_3) | instskip(SKIP_2) | instid1(VALU_DEP_4)
	v_fmamk_f32 v73, v81, 0x3f5db3d7, v13
	v_fmac_f32_e32 v13, 0xbf5db3d7, v81
	v_add_f32_e32 v81, v80, v82
	v_dual_add_f32 v79, v79, v82 :: v_dual_add_f32 v82, v85, v139
	v_fmamk_f32 v80, v83, 0xbf5db3d7, v90
	v_dual_fmac_f32 v90, 0x3f5db3d7, v83 :: v_dual_add_f32 v83, v92, v85
	s_delay_alu instid0(VALU_DEP_4) | instskip(NEXT) | instid1(VALU_DEP_4)
	v_fmac_f32_e32 v91, -0.5, v81
	v_fma_f32 v82, -0.5, v82, v92
	s_delay_alu instid0(VALU_DEP_2) | instskip(NEXT) | instid1(VALU_DEP_4)
	v_dual_add_f32 v92, v93, v86 :: v_dual_fmamk_f32 v81, v84, 0x3f5db3d7, v91
	v_dual_fmac_f32 v91, 0xbf5db3d7, v84 :: v_dual_add_f32 v84, v83, v139
	v_fma_f32 v83, -0.5, v88, v93
	v_sub_f32_e32 v88, v85, v139
	s_delay_alu instid0(VALU_DEP_4) | instskip(SKIP_1) | instid1(VALU_DEP_3)
	v_dual_add_f32 v85, v92, v87 :: v_dual_add_f32 v92, v94, v145
	v_add_f32_e32 v93, v97, v98
	v_fmamk_f32 v87, v88, 0x3f5db3d7, v83
	v_fmac_f32_e32 v83, 0xbf5db3d7, v88
	s_delay_alu instid0(VALU_DEP_4) | instskip(SKIP_3) | instid1(VALU_DEP_2)
	v_add_f32_e32 v88, v92, v96
	v_fmamk_f32 v86, v89, 0xbf5db3d7, v82
	v_dual_fmac_f32 v82, 0x3f5db3d7, v89 :: v_dual_add_f32 v89, v145, v96
	v_sub_f32_e32 v96, v145, v96
	v_fma_f32 v94, -0.5, v89, v94
	v_sub_f32_e32 v89, v97, v98
	s_delay_alu instid0(VALU_DEP_1) | instskip(NEXT) | instid1(VALU_DEP_1)
	v_dual_add_f32 v97, v95, v97 :: v_dual_fmamk_f32 v92, v89, 0xbf5db3d7, v94
	v_dual_fmac_f32 v94, 0x3f5db3d7, v89 :: v_dual_add_f32 v89, v97, v98
	v_add_f32_e32 v97, v100, v99
	v_add_f32_e32 v98, v76, v100
	v_sub_f32_e32 v100, v100, v99
	s_delay_alu instid0(VALU_DEP_3) | instskip(SKIP_2) | instid1(VALU_DEP_1)
	v_fma_f32 v76, -0.5, v97, v76
	v_sub_f32_e32 v97, v101, v102
	v_fmac_f32_e32 v95, -0.5, v93
	v_fmamk_f32 v93, v96, 0x3f5db3d7, v95
	v_dual_fmac_f32 v95, 0xbf5db3d7, v96 :: v_dual_add_f32 v96, v101, v102
	v_add_f32_e32 v101, v77, v101
	s_delay_alu instid0(VALU_DEP_2) | instskip(SKIP_1) | instid1(VALU_DEP_3)
	v_dual_fmac_f32 v77, -0.5, v96 :: v_dual_add_f32 v96, v98, v99
	v_fmamk_f32 v98, v97, 0xbf5db3d7, v76
	v_dual_fmac_f32 v76, 0x3f5db3d7, v97 :: v_dual_add_f32 v97, v101, v102
	s_delay_alu instid0(VALU_DEP_3)
	v_fmamk_f32 v99, v100, 0x3f5db3d7, v77
	v_fmac_f32_e32 v77, 0xbf5db3d7, v100
	ds_store_2addr_b64 v182, v[14:15], v[72:73] offset1:16
	ds_store_b64 v182, v[12:13] offset:256
	ds_store_2addr_b64 v181, v[78:79], v[80:81] offset1:16
	ds_store_b64 v181, v[90:91] offset:256
	;; [unrolled: 2-line block ×5, first 2 shown]
	v_add_nc_u32_e32 v72, 0x1c00, v143
	v_add_nc_u32_e32 v73, 0x2400, v143
	;; [unrolled: 1-line block ×3, first 2 shown]
	global_wb scope:SCOPE_SE
	s_wait_dscnt 0x0
	s_barrier_signal -1
	s_barrier_wait -1
	global_inv scope:SCOPE_SE
	ds_load_2addr_b64 v[12:15], v143 offset1:112
	ds_load_2addr_b64 v[90:93], v137 offset0:112 offset1:224
	ds_load_2addr_b64 v[98:101], v135 offset0:96 offset1:208
	;; [unrolled: 1-line block ×6, first 2 shown]
	s_and_saveexec_b32 s1, s0
	s_cbranch_execz .LBB0_43
; %bb.42:
	v_add_nc_u32_e32 v64, 0x700, v143
	v_add_nc_u32_e32 v68, 0x2500, v143
	ds_load_2addr_b64 v[72:75], v64 offset1:240
	s_wait_dscnt 0x0
	v_dual_mov_b32 v76, v72 :: v_dual_add_nc_u32 v65, 0x1600, v143
	ds_load_b64 v[141:142], v143 offset:13312
	ds_load_2addr_b64 v[64:67], v65 offset1:240
	ds_load_2addr_b64 v[68:71], v68 offset1:240
	v_mov_b32_e32 v77, v73
.LBB0_43:
	s_wait_alu 0xfffe
	s_or_b32 exec_lo, exec_lo, s1
	s_wait_dscnt 0x5
	v_mul_f32_e32 v72, v37, v91
	v_mul_f32_e32 v37, v37, v90
	s_wait_dscnt 0x4
	v_mul_f32_e32 v73, v39, v99
	v_mul_f32_e32 v39, v39, v98
	global_wb scope:SCOPE_SE
	s_wait_dscnt 0x0
	v_fmac_f32_e32 v72, v36, v90
	v_fma_f32 v36, v36, v91, -v37
	v_fmac_f32_e32 v73, v38, v98
	v_fma_f32 v37, v38, v99, -v39
	v_mul_f32_e32 v38, v33, v95
	v_mul_f32_e32 v33, v33, v94
	;; [unrolled: 1-line block ×3, first 2 shown]
	v_dual_mul_f32 v35, v35, v86 :: v_dual_mul_f32 v90, v29, v83
	s_delay_alu instid0(VALU_DEP_4) | instskip(NEXT) | instid1(VALU_DEP_4)
	v_fmac_f32_e32 v38, v32, v94
	v_fma_f32 v32, v32, v95, -v33
	s_delay_alu instid0(VALU_DEP_4) | instskip(NEXT) | instid1(VALU_DEP_4)
	v_fmac_f32_e32 v39, v34, v86
	v_fma_f32 v33, v34, v87, -v35
	v_mul_f32_e32 v34, v31, v79
	v_dual_fmac_f32 v90, v28, v82 :: v_dual_mul_f32 v35, v25, v93
	v_dual_mul_f32 v31, v31, v78 :: v_dual_mul_f32 v86, v17, v85
	s_delay_alu instid0(VALU_DEP_3)
	v_dual_mul_f32 v25, v25, v92 :: v_dual_fmac_f32 v34, v30, v78
	v_mul_f32_e32 v78, v21, v97
	v_mul_f32_e32 v29, v29, v82
	v_fmac_f32_e32 v35, v24, v92
	v_mul_f32_e32 v21, v21, v96
	v_mul_f32_e32 v17, v17, v84
	v_fmac_f32_e32 v78, v20, v96
	v_fma_f32 v28, v28, v83, -v29
	v_fma_f32 v29, v30, v79, -v31
	;; [unrolled: 1-line block ×3, first 2 shown]
	v_mul_f32_e32 v24, v27, v100
	v_dual_mul_f32 v31, v27, v101 :: v_dual_fmac_f32 v86, v16, v84
	v_mul_f32_e32 v79, v23, v89
	v_sub_f32_e32 v27, v33, v32
	s_delay_alu instid0(VALU_DEP_4)
	v_fma_f32 v82, v26, v101, -v24
	v_add_f32_e32 v24, v38, v39
	v_fma_f32 v84, v16, v85, -v17
	v_add_f32_e32 v16, v72, v34
	v_fma_f32 v83, v20, v97, -v21
	v_dual_mul_f32 v20, v23, v88 :: v_dual_add_f32 v17, v36, v29
	v_mul_f32_e32 v87, v19, v81
	v_mul_f32_e32 v19, v19, v80
	v_fmac_f32_e32 v31, v26, v100
	v_dual_sub_f32 v23, v37, v28 :: v_dual_sub_f32 v26, v39, v38
	s_delay_alu instid0(VALU_DEP_4) | instskip(NEXT) | instid1(VALU_DEP_4)
	v_fmac_f32_e32 v87, v18, v80
	v_fma_f32 v80, v18, v81, -v19
	v_dual_sub_f32 v18, v72, v34 :: v_dual_fmac_f32 v79, v22, v88
	v_fma_f32 v88, v22, v89, -v20
	v_sub_f32_e32 v22, v73, v90
	v_add_f32_e32 v20, v73, v90
	v_add_f32_e32 v21, v37, v28
	s_barrier_signal -1
	s_barrier_wait -1
	v_add_f32_e32 v34, v26, v22
	v_sub_f32_e32 v37, v26, v22
	v_add_f32_e32 v25, v32, v33
	v_add_f32_e32 v28, v20, v16
	v_sub_f32_e32 v26, v18, v26
	v_sub_f32_e32 v22, v22, v18
	v_add_f32_e32 v18, v34, v18
	v_mul_f32_e32 v34, 0x3f08b237, v37
	v_dual_sub_f32 v19, v36, v29 :: v_dual_sub_f32 v38, v27, v23
	v_dual_add_f32 v29, v21, v17 :: v_dual_sub_f32 v32, v20, v16
	v_dual_sub_f32 v33, v21, v17 :: v_dual_sub_f32 v16, v16, v24
	v_dual_sub_f32 v17, v17, v25 :: v_dual_sub_f32 v20, v24, v20
	v_dual_sub_f32 v21, v25, v21 :: v_dual_add_f32 v24, v24, v28
	s_delay_alu instid0(VALU_DEP_4) | instskip(NEXT) | instid1(VALU_DEP_3)
	v_dual_add_f32 v25, v25, v29 :: v_dual_add_f32 v36, v27, v23
	v_dual_mul_f32 v28, 0x3d64c772, v20 :: v_dual_sub_f32 v27, v19, v27
	v_dual_mul_f32 v16, 0x3f4a47b2, v16 :: v_dual_sub_f32 v23, v23, v19
	s_delay_alu instid0(VALU_DEP_3) | instskip(NEXT) | instid1(VALU_DEP_4)
	v_dual_add_f32 v12, v12, v24 :: v_dual_add_f32 v13, v13, v25
	v_add_f32_e32 v19, v36, v19
	s_delay_alu instid0(VALU_DEP_3)
	v_dual_mul_f32 v29, 0x3d64c772, v21 :: v_dual_fmamk_f32 v20, v20, 0x3d64c772, v16
	v_mul_f32_e32 v36, 0x3f08b237, v38
	v_mul_f32_e32 v38, 0xbf5ff5aa, v23
	v_dual_fmamk_f32 v24, v24, 0xbf955555, v12 :: v_dual_fmamk_f32 v25, v25, 0xbf955555, v13
	v_mul_f32_e32 v17, 0x3f4a47b2, v17
	v_fma_f32 v28, 0x3f3bfb3b, v32, -v28
	v_fma_f32 v29, 0x3f3bfb3b, v33, -v29
	v_mul_f32_e32 v37, 0xbf5ff5aa, v22
	v_fma_f32 v16, 0xbf3bfb3b, v32, -v16
	v_fmamk_f32 v21, v21, 0x3d64c772, v17
	v_fmamk_f32 v32, v26, 0xbeae86e6, v34
	v_fma_f32 v34, 0xbf5ff5aa, v22, -v34
	v_fma_f32 v22, 0xbf5ff5aa, v23, -v36
	;; [unrolled: 1-line block ×3, first 2 shown]
	v_dual_add_f32 v23, v28, v24 :: v_dual_add_f32 v28, v29, v25
	s_delay_alu instid0(VALU_DEP_4)
	v_fmac_f32_e32 v34, 0xbee1c552, v18
	v_fma_f32 v26, 0x3eae86e6, v26, -v37
	v_fmac_f32_e32 v32, 0xbee1c552, v18
	v_fmac_f32_e32 v22, 0xbee1c552, v19
	v_fmamk_f32 v33, v27, 0xbeae86e6, v36
	v_fma_f32 v27, 0x3eae86e6, v27, -v38
	v_add_f32_e32 v36, v20, v24
	v_dual_add_f32 v24, v16, v24 :: v_dual_add_f32 v37, v21, v25
	v_dual_add_f32 v25, v17, v25 :: v_dual_fmac_f32 v26, 0xbee1c552, v18
	s_delay_alu instid0(VALU_DEP_4) | instskip(SKIP_1) | instid1(VALU_DEP_4)
	v_fmac_f32_e32 v27, 0xbee1c552, v19
	v_add_f32_e32 v21, v34, v28
	v_dual_sub_f32 v17, v37, v32 :: v_dual_sub_f32 v20, v23, v22
	v_add_f32_e32 v22, v22, v23
	s_delay_alu instid0(VALU_DEP_4) | instskip(SKIP_2) | instid1(VALU_DEP_3)
	v_dual_fmac_f32 v33, 0xbee1c552, v19 :: v_dual_add_f32 v18, v27, v24
	v_dual_sub_f32 v23, v28, v34 :: v_dual_add_f32 v28, v35, v87
	v_add_f32_e32 v29, v30, v80
	v_add_f32_e32 v16, v33, v36
	v_dual_sub_f32 v19, v25, v26 :: v_dual_sub_f32 v24, v24, v27
	v_add_f32_e32 v25, v26, v25
	v_dual_sub_f32 v26, v36, v33 :: v_dual_add_f32 v33, v31, v86
	v_dual_add_f32 v34, v82, v84 :: v_dual_add_f32 v27, v32, v37
	v_sub_f32_e32 v30, v30, v80
	v_sub_f32_e32 v32, v35, v87
	v_dual_sub_f32 v31, v31, v86 :: v_dual_add_f32 v36, v78, v79
	v_dual_sub_f32 v35, v82, v84 :: v_dual_sub_f32 v38, v79, v78
	v_add_f32_e32 v37, v83, v88
	v_dual_sub_f32 v39, v88, v83 :: v_dual_add_f32 v72, v33, v28
	v_dual_add_f32 v73, v34, v29 :: v_dual_sub_f32 v78, v33, v28
	v_dual_sub_f32 v79, v34, v29 :: v_dual_sub_f32 v28, v28, v36
	s_delay_alu instid0(VALU_DEP_4) | instskip(SKIP_3) | instid1(VALU_DEP_2)
	v_dual_add_f32 v80, v38, v31 :: v_dual_sub_f32 v29, v29, v37
	v_dual_sub_f32 v82, v38, v31 :: v_dual_sub_f32 v33, v36, v33
	v_dual_sub_f32 v34, v37, v34 :: v_dual_sub_f32 v83, v39, v35
	v_dual_add_f32 v36, v36, v72 :: v_dual_add_f32 v37, v37, v73
	v_dual_mul_f32 v72, 0x3d64c772, v33 :: v_dual_mul_f32 v73, 0x3d64c772, v34
	v_dual_add_f32 v81, v39, v35 :: v_dual_sub_f32 v38, v32, v38
	s_delay_alu instid0(VALU_DEP_3)
	v_dual_add_f32 v14, v14, v36 :: v_dual_add_f32 v15, v15, v37
	v_sub_f32_e32 v39, v30, v39
	v_sub_f32_e32 v31, v31, v32
	v_dual_sub_f32 v35, v35, v30 :: v_dual_mul_f32 v28, 0x3f4a47b2, v28
	v_add_f32_e32 v32, v80, v32
	v_mul_f32_e32 v80, 0x3f08b237, v82
	v_dual_fmamk_f32 v36, v36, 0xbf955555, v14 :: v_dual_fmamk_f32 v37, v37, 0xbf955555, v15
	v_fma_f32 v72, 0x3f3bfb3b, v78, -v72
	v_dual_mul_f32 v29, 0x3f4a47b2, v29 :: v_dual_add_f32 v30, v81, v30
	v_fmamk_f32 v33, v33, 0x3d64c772, v28
	v_fma_f32 v73, 0x3f3bfb3b, v79, -v73
	v_fma_f32 v28, 0xbf3bfb3b, v78, -v28
	s_delay_alu instid0(VALU_DEP_4)
	v_fmamk_f32 v34, v34, 0x3d64c772, v29
	v_mul_f32_e32 v81, 0x3f08b237, v83
	v_mul_f32_e32 v82, 0xbf5ff5aa, v31
	;; [unrolled: 1-line block ×3, first 2 shown]
	v_fmamk_f32 v78, v38, 0xbeae86e6, v80
	v_fma_f32 v80, 0xbf5ff5aa, v31, -v80
	global_inv scope:SCOPE_SE
	v_fma_f32 v38, 0x3eae86e6, v38, -v82
	v_add_f32_e32 v82, v34, v37
	v_add_f32_e32 v34, v72, v36
	v_fma_f32 v29, 0xbf3bfb3b, v79, -v29
	v_fmamk_f32 v79, v39, 0xbeae86e6, v81
	v_fma_f32 v35, 0xbf5ff5aa, v35, -v81
	v_add_f32_e32 v72, v73, v37
	v_fma_f32 v39, 0x3eae86e6, v39, -v83
	v_add_f32_e32 v81, v33, v36
	v_dual_fmac_f32 v78, 0xbee1c552, v32 :: v_dual_fmac_f32 v79, 0xbee1c552, v30
	v_dual_add_f32 v36, v28, v36 :: v_dual_add_f32 v37, v29, v37
	s_delay_alu instid0(VALU_DEP_4) | instskip(SKIP_1) | instid1(VALU_DEP_4)
	v_dual_fmac_f32 v80, 0xbee1c552, v32 :: v_dual_fmac_f32 v39, 0xbee1c552, v30
	v_dual_fmac_f32 v38, 0xbee1c552, v32 :: v_dual_fmac_f32 v35, 0xbee1c552, v30
	v_dual_add_f32 v28, v79, v81 :: v_dual_sub_f32 v29, v82, v78
	s_delay_alu instid0(VALU_DEP_2) | instskip(NEXT) | instid1(VALU_DEP_3)
	v_dual_add_f32 v30, v39, v36 :: v_dual_sub_f32 v31, v37, v38
	v_dual_sub_f32 v32, v34, v35 :: v_dual_add_f32 v33, v80, v72
	v_dual_add_f32 v34, v35, v34 :: v_dual_sub_f32 v35, v72, v80
	v_dual_sub_f32 v36, v36, v39 :: v_dual_add_f32 v37, v38, v37
	v_dual_sub_f32 v38, v81, v79 :: v_dual_add_f32 v39, v78, v82
	ds_store_2addr_b64 v185, v[12:13], v[16:17] offset1:48
	ds_store_2addr_b64 v185, v[18:19], v[20:21] offset0:96 offset1:144
	ds_store_2addr_b64 v185, v[22:23], v[24:25] offset0:192 offset1:240
	ds_store_b64 v185, v[26:27] offset:2304
	ds_store_2addr_b64 v184, v[14:15], v[28:29] offset1:48
	ds_store_2addr_b64 v184, v[30:31], v[32:33] offset0:96 offset1:144
	ds_store_2addr_b64 v184, v[34:35], v[36:37] offset0:192 offset1:240
	ds_store_b64 v184, v[38:39] offset:2304
	s_and_saveexec_b32 s1, s0
	s_cbranch_execz .LBB0_45
; %bb.44:
	v_dual_mul_f32 v12, v5, v75 :: v_dual_mul_f32 v13, v3, v69
	v_dual_mul_f32 v14, v1, v67 :: v_dual_mul_f32 v15, v7, v65
	;; [unrolled: 1-line block ×3, first 2 shown]
	s_delay_alu instid0(VALU_DEP_2) | instskip(NEXT) | instid1(VALU_DEP_2)
	v_dual_fmac_f32 v13, v2, v68 :: v_dual_fmac_f32 v14, v0, v66
	v_dual_fmac_f32 v15, v6, v64 :: v_dual_fmac_f32 v16, v8, v70
	s_delay_alu instid0(VALU_DEP_3) | instskip(NEXT) | instid1(VALU_DEP_3)
	v_dual_fmac_f32 v12, v4, v74 :: v_dual_fmac_f32 v17, v10, v141
	v_dual_sub_f32 v18, v13, v14 :: v_dual_mul_f32 v3, v3, v68
	s_delay_alu instid0(VALU_DEP_3) | instskip(SKIP_1) | instid1(VALU_DEP_4)
	v_sub_f32_e32 v19, v15, v16
	v_add_f32_e32 v15, v16, v15
	v_sub_f32_e32 v20, v12, v17
	v_add_f32_e32 v13, v14, v13
	v_fma_f32 v2, v2, v69, -v3
	v_dual_sub_f32 v21, v18, v19 :: v_dual_add_f32 v12, v17, v12
	v_mul_f32_e32 v1, v1, v66
	s_delay_alu instid0(VALU_DEP_2) | instskip(NEXT) | instid1(VALU_DEP_3)
	v_mul_f32_e32 v21, 0x3f08b237, v21
	v_dual_mul_f32 v5, v5, v74 :: v_dual_add_f32 v14, v15, v12
	s_delay_alu instid0(VALU_DEP_3) | instskip(NEXT) | instid1(VALU_DEP_2)
	v_fma_f32 v0, v0, v67, -v1
	v_fma_f32 v4, v4, v75, -v5
	v_mul_f32_e32 v11, v11, v141
	s_delay_alu instid0(VALU_DEP_3) | instskip(SKIP_2) | instid1(VALU_DEP_4)
	v_dual_add_f32 v1, v0, v2 :: v_dual_sub_f32 v2, v2, v0
	v_mul_f32_e32 v9, v9, v70
	v_mul_f32_e32 v7, v7, v64
	v_fma_f32 v10, v10, v142, -v11
	s_delay_alu instid0(VALU_DEP_3) | instskip(NEXT) | instid1(VALU_DEP_3)
	v_fma_f32 v5, v8, v71, -v9
	v_fma_f32 v6, v6, v65, -v7
	s_delay_alu instid0(VALU_DEP_3) | instskip(SKIP_1) | instid1(VALU_DEP_2)
	v_add_f32_e32 v8, v10, v4
	v_sub_f32_e32 v4, v4, v10
	v_dual_add_f32 v9, v5, v6 :: v_dual_sub_f32 v22, v8, v1
	s_delay_alu instid0(VALU_DEP_1) | instskip(SKIP_2) | instid1(VALU_DEP_1)
	v_add_f32_e32 v3, v9, v8
	v_dual_sub_f32 v16, v1, v9 :: v_dual_add_f32 v7, v18, v19
	v_sub_f32_e32 v19, v19, v20
	v_dual_sub_f32 v5, v6, v5 :: v_dual_mul_f32 v26, 0xbf5ff5aa, v19
	s_delay_alu instid0(VALU_DEP_1) | instskip(SKIP_1) | instid1(VALU_DEP_2)
	v_dual_add_f32 v3, v1, v3 :: v_dual_sub_f32 v10, v2, v5
	v_dual_sub_f32 v25, v4, v2 :: v_dual_add_f32 v2, v2, v5
	v_dual_add_f32 v1, v77, v3 :: v_dual_mul_f32 v10, 0x3f08b237, v10
	s_delay_alu instid0(VALU_DEP_2) | instskip(NEXT) | instid1(VALU_DEP_2)
	v_add_f32_e32 v2, v2, v4
	v_dual_fmamk_f32 v24, v3, 0xbf955555, v1 :: v_dual_add_f32 v3, v13, v14
	v_mul_f32_e32 v17, 0x3f4a47b2, v22
	v_mul_f32_e32 v22, 0x3d64c772, v16
	v_sub_f32_e32 v8, v9, v8
	s_delay_alu instid0(VALU_DEP_4) | instskip(NEXT) | instid1(VALU_DEP_4)
	v_add_f32_e32 v0, v76, v3
	v_fmamk_f32 v16, v16, 0x3d64c772, v17
	s_delay_alu instid0(VALU_DEP_1) | instskip(SKIP_3) | instid1(VALU_DEP_3)
	v_add_f32_e32 v14, v16, v24
	v_sub_f32_e32 v23, v12, v13
	v_add_f32_e32 v7, v7, v20
	v_sub_f32_e32 v13, v13, v15
	v_mul_f32_e32 v6, 0x3f4a47b2, v23
	v_fmamk_f32 v23, v3, 0xbf955555, v0
	s_delay_alu instid0(VALU_DEP_2)
	v_dual_sub_f32 v11, v20, v18 :: v_dual_fmamk_f32 v16, v13, 0x3d64c772, v6
	v_mul_f32_e32 v13, 0x3d64c772, v13
	v_sub_f32_e32 v9, v15, v12
	v_sub_f32_e32 v12, v5, v4
	v_fmamk_f32 v20, v25, 0xbeae86e6, v10
	v_fmamk_f32 v18, v11, 0xbeae86e6, v21
	v_fma_f32 v5, 0xbf3bfb3b, v8, -v17
	v_fma_f32 v4, 0x3f3bfb3b, v8, -v22
	v_fma_f32 v10, 0xbf5ff5aa, v12, -v10
	v_add_f32_e32 v16, v16, v23
	v_fmac_f32_e32 v18, 0xbee1c552, v7
	v_fma_f32 v11, 0x3eae86e6, v11, -v26
	v_fmac_f32_e32 v20, 0xbee1c552, v2
	v_fmac_f32_e32 v10, 0xbee1c552, v2
	v_fma_f32 v6, 0xbf3bfb3b, v9, -v6
	s_delay_alu instid0(VALU_DEP_4) | instskip(NEXT) | instid1(VALU_DEP_2)
	v_fmac_f32_e32 v11, 0xbee1c552, v7
	v_dual_add_f32 v26, v6, v23 :: v_dual_add_f32 v17, v5, v24
	v_fma_f32 v5, 0x3f3bfb3b, v9, -v13
	v_mul_f32_e32 v15, 0xbf5ff5aa, v12
	v_fma_f32 v8, 0xbf5ff5aa, v19, -v21
	v_add_f32_e32 v3, v18, v14
	v_lshlrev_b32_e32 v19, 3, v183
	v_add_f32_e32 v12, v5, v23
	v_fma_f32 v15, 0x3eae86e6, v25, -v15
	v_dual_add_f32 v9, v4, v24 :: v_dual_fmac_f32 v8, 0xbee1c552, v7
	s_delay_alu instid0(VALU_DEP_4) | instskip(NEXT) | instid1(VALU_DEP_3)
	v_dual_sub_f32 v13, v14, v18 :: v_dual_add_nc_u32 v14, 0x2800, v19
	v_dual_fmac_f32 v15, 0xbee1c552, v2 :: v_dual_add_f32 v6, v10, v12
	s_delay_alu instid0(VALU_DEP_3) | instskip(SKIP_2) | instid1(VALU_DEP_4)
	v_sub_f32_e32 v7, v9, v8
	v_add_f32_e32 v9, v8, v9
	v_sub_f32_e32 v8, v12, v10
	v_add_f32_e32 v10, v15, v26
	v_dual_sub_f32 v4, v26, v15 :: v_dual_add_f32 v5, v11, v17
	v_dual_add_f32 v12, v20, v16 :: v_dual_sub_f32 v11, v17, v11
	v_dual_sub_f32 v2, v16, v20 :: v_dual_add_nc_u32 v15, 0x3000, v19
	ds_store_2addr_b64 v14, v[0:1], v[12:13] offset0:64 offset1:112
	ds_store_2addr_b64 v14, v[10:11], v[8:9] offset0:160 offset1:208
	ds_store_2addr_b64 v15, v[6:7], v[4:5] offset1:48
	ds_store_b64 v19, v[2:3] offset:13056
.LBB0_45:
	s_wait_alu 0xfffe
	s_or_b32 exec_lo, exec_lo, s1
	v_add_nc_u32_e32 v2, 0x400, v143
	global_wb scope:SCOPE_SE
	s_wait_dscnt 0x0
	s_barrier_signal -1
	s_barrier_wait -1
	global_inv scope:SCOPE_SE
	ds_load_2addr_b64 v[4:7], v2 offset0:96 offset1:208
	v_add_nc_u32_e32 v3, 0x1400, v143
	v_add_nc_u32_e32 v0, 0x2800, v143
	s_mov_b32 s2, 0x13813814
	s_mov_b32 s3, 0x3f438138
	s_wait_dscnt 0x0
	v_mul_f32_e32 v34, v45, v7
	v_add_nc_u32_e32 v1, 0x1800, v143
	v_mul_f32_e32 v35, v45, v6
	s_delay_alu instid0(VALU_DEP_3)
	v_fmac_f32_e32 v34, v44, v6
	ds_load_2addr_b64 v[8:11], v3 offset0:32 offset1:144
	ds_load_2addr_b64 v[12:15], v1 offset0:128 offset1:240
	;; [unrolled: 1-line block ×3, first 2 shown]
	v_add_nc_u32_e32 v28, 0x2000, v143
	v_fma_f32 v35, v44, v7, -v35
	s_wait_dscnt 0x1
	v_dual_mul_f32 v36, v47, v9 :: v_dual_mul_f32 v39, v61, v14
	v_add_nc_u32_e32 v1, 0xc00, v143
	v_dual_mul_f32 v37, v47, v8 :: v_dual_mul_f32 v38, v61, v15
	s_wait_dscnt 0x0
	v_mul_f32_e32 v47, v63, v16
	v_fmac_f32_e32 v36, v46, v8
	ds_load_2addr_b64 v[20:23], v1 offset0:64 offset1:176
	ds_load_2addr_b64 v[24:27], v143 offset1:112
	ds_load_b64 v[32:33], v143 offset:12544
	ds_load_2addr_b64 v[28:31], v28 offset0:96 offset1:208
	v_mul_f32_e32 v45, v63, v17
	v_fma_f32 v37, v46, v9, -v37
	v_fmac_f32_e32 v38, v60, v14
	v_fma_f32 v39, v60, v15, -v39
	s_delay_alu instid0(VALU_DEP_4) | instskip(SKIP_1) | instid1(VALU_DEP_1)
	v_fmac_f32_e32 v45, v62, v16
	v_fma_f32 v16, v62, v17, -v47
	v_sub_f32_e32 v9, v35, v16
	s_wait_dscnt 0x2
	v_add_f32_e32 v17, v25, v35
	v_mul_f32_e32 v44, v49, v21
	v_mul_f32_e32 v6, v49, v20
	s_wait_dscnt 0x0
	v_mul_f32_e32 v47, v57, v29
	v_mul_f32_e32 v7, v57, v28
	;; [unrolled: 1-line block ×3, first 2 shown]
	v_fma_f32 v46, v48, v21, -v6
	v_dual_mul_f32 v21, v51, v11 :: v_dual_fmac_f32 v44, v48, v20
	v_mul_f32_e32 v6, v51, v10
	v_dual_mul_f32 v48, v59, v19 :: v_dual_fmac_f32 v47, v56, v28
	s_delay_alu instid0(VALU_DEP_3) | instskip(SKIP_1) | instid1(VALU_DEP_4)
	v_fmac_f32_e32 v21, v50, v10
	v_fma_f32 v28, v56, v29, -v7
	v_fma_f32 v49, v50, v11, -v6
	s_delay_alu instid0(VALU_DEP_4) | instskip(SKIP_2) | instid1(VALU_DEP_3)
	v_dual_fmac_f32 v48, v58, v18 :: v_dual_mul_f32 v29, v53, v23
	v_dual_mul_f32 v7, v53, v22 :: v_dual_mul_f32 v50, v55, v13
	v_dual_mul_f32 v8, v55, v12 :: v_dual_sub_f32 v11, v37, v39
	v_fmac_f32_e32 v29, v52, v22
	s_delay_alu instid0(VALU_DEP_3) | instskip(NEXT) | instid1(VALU_DEP_4)
	v_fma_f32 v52, v52, v23, -v7
	v_dual_fmac_f32 v50, v54, v12 :: v_dual_mul_f32 v7, v41, v30
	s_delay_alu instid0(VALU_DEP_4) | instskip(SKIP_4) | instid1(VALU_DEP_4)
	v_fma_f32 v53, v54, v13, -v8
	v_dual_mul_f32 v54, v41, v31 :: v_dual_mul_f32 v41, v43, v33
	v_mul_f32_e32 v6, v59, v18
	v_add_f32_e32 v8, v24, v34
	v_fma_f32 v31, v40, v31, -v7
	v_dual_fmac_f32 v54, v40, v30 :: v_dual_add_f32 v13, v34, v45
	v_fmac_f32_e32 v41, v42, v32
	v_fma_f32 v51, v58, v19, -v6
	v_add_f32_e32 v6, v36, v38
	v_sub_f32_e32 v12, v45, v38
	v_dual_add_f32 v18, v37, v39 :: v_dual_sub_f32 v19, v35, v37
	v_sub_f32_e32 v20, v16, v39
	s_delay_alu instid0(VALU_DEP_4) | instskip(SKIP_2) | instid1(VALU_DEP_3)
	v_fma_f32 v6, -0.5, v6, v24
	v_add_f32_e32 v7, v8, v36
	v_add_f32_e32 v23, v26, v44
	v_dual_add_f32 v19, v19, v20 :: v_dual_fmamk_f32 v8, v9, 0xbf737871, v6
	s_delay_alu instid0(VALU_DEP_3) | instskip(SKIP_1) | instid1(VALU_DEP_2)
	v_dual_sub_f32 v10, v34, v36 :: v_dual_add_f32 v7, v7, v38
	v_fmac_f32_e32 v6, 0x3f737871, v9
	v_dual_fmac_f32 v8, 0xbf167918, v11 :: v_dual_add_f32 v15, v10, v12
	v_fma_f32 v10, -0.5, v13, v24
	s_delay_alu instid0(VALU_DEP_4) | instskip(SKIP_1) | instid1(VALU_DEP_3)
	v_dual_add_f32 v12, v7, v45 :: v_dual_sub_f32 v7, v36, v34
	v_fma_f32 v40, v42, v33, -v14
	v_dual_sub_f32 v13, v38, v45 :: v_dual_fmamk_f32 v14, v11, 0x3f737871, v10
	v_fmac_f32_e32 v6, 0x3f167918, v11
	v_dual_fmac_f32 v10, 0xbf737871, v11 :: v_dual_add_f32 v11, v17, v37
	s_delay_alu instid0(VALU_DEP_3) | instskip(NEXT) | instid1(VALU_DEP_3)
	v_dual_fmac_f32 v8, 0x3e9e377a, v15 :: v_dual_add_f32 v13, v7, v13
	v_dual_sub_f32 v17, v34, v45 :: v_dual_fmac_f32 v6, 0x3e9e377a, v15
	s_delay_alu instid0(VALU_DEP_3)
	v_add_f32_e32 v15, v11, v39
	v_add_f32_e32 v11, v35, v16
	v_fma_f32 v7, -0.5, v18, v25
	v_fmac_f32_e32 v14, 0xbf167918, v9
	v_sub_f32_e32 v18, v36, v38
	v_fmac_f32_e32 v10, 0x3f167918, v9
	v_fma_f32 v11, -0.5, v11, v25
	v_fmamk_f32 v9, v17, 0x3f737871, v7
	v_dual_fmac_f32 v7, 0xbf737871, v17 :: v_dual_sub_f32 v20, v37, v35
	v_sub_f32_e32 v33, v46, v49
	s_delay_alu instid0(VALU_DEP_3) | instskip(NEXT) | instid1(VALU_DEP_3)
	v_dual_add_f32 v36, v29, v41 :: v_dual_fmac_f32 v9, 0x3f167918, v18
	v_fmac_f32_e32 v7, 0xbf167918, v18
	v_fmac_f32_e32 v14, 0x3e9e377a, v13
	v_dual_fmac_f32 v10, 0x3e9e377a, v13 :: v_dual_add_f32 v13, v15, v16
	v_dual_fmamk_f32 v15, v18, 0xbf737871, v11 :: v_dual_sub_f32 v16, v39, v16
	v_add_f32_e32 v22, v21, v47
	v_fmac_f32_e32 v9, 0x3e9e377a, v19
	v_fmac_f32_e32 v7, 0x3e9e377a, v19
	s_delay_alu instid0(VALU_DEP_4) | instskip(NEXT) | instid1(VALU_DEP_4)
	v_dual_fmac_f32 v15, 0x3f167918, v17 :: v_dual_add_f32 v20, v20, v16
	v_fma_f32 v16, -0.5, v22, v26
	v_dual_sub_f32 v24, v46, v51 :: v_dual_fmac_f32 v11, 0x3f737871, v18
	s_delay_alu instid0(VALU_DEP_3) | instskip(NEXT) | instid1(VALU_DEP_2)
	v_dual_sub_f32 v22, v44, v21 :: v_dual_fmac_f32 v15, 0x3e9e377a, v20
	v_dual_add_f32 v19, v23, v21 :: v_dual_fmamk_f32 v18, v24, 0xbf737871, v16
	s_delay_alu instid0(VALU_DEP_3) | instskip(NEXT) | instid1(VALU_DEP_2)
	v_dual_add_f32 v30, v44, v48 :: v_dual_fmac_f32 v11, 0xbf167918, v17
	v_dual_fmac_f32 v16, 0x3f737871, v24 :: v_dual_add_f32 v17, v19, v47
	v_sub_f32_e32 v25, v48, v47
	s_delay_alu instid0(VALU_DEP_3) | instskip(NEXT) | instid1(VALU_DEP_4)
	v_fma_f32 v26, -0.5, v30, v26
	v_dual_fmac_f32 v11, 0x3e9e377a, v20 :: v_dual_add_f32 v30, v27, v46
	s_delay_alu instid0(VALU_DEP_3) | instskip(SKIP_4) | instid1(VALU_DEP_4)
	v_dual_add_f32 v20, v17, v48 :: v_dual_add_f32 v19, v22, v25
	v_sub_f32_e32 v23, v49, v28
	v_sub_f32_e32 v17, v21, v44
	v_add_f32_e32 v32, v49, v28
	v_sub_f32_e32 v37, v29, v41
	v_dual_sub_f32 v39, v53, v52 :: v_dual_fmac_f32 v18, 0xbf167918, v23
	s_delay_alu instid0(VALU_DEP_1) | instskip(SKIP_3) | instid1(VALU_DEP_2)
	v_fmac_f32_e32 v18, 0x3e9e377a, v19
	v_fmamk_f32 v22, v23, 0x3f737871, v26
	v_dual_sub_f32 v25, v47, v48 :: v_dual_fmac_f32 v16, 0x3f167918, v23
	v_dual_fmac_f32 v26, 0xbf737871, v23 :: v_dual_add_f32 v23, v30, v49
	v_dual_fmac_f32 v22, 0xbf167918, v24 :: v_dual_add_f32 v25, v17, v25
	v_fma_f32 v17, -0.5, v32, v27
	v_sub_f32_e32 v30, v44, v48
	s_delay_alu instid0(VALU_DEP_4)
	v_dual_add_f32 v23, v23, v28 :: v_dual_sub_f32 v32, v21, v47
	v_sub_f32_e32 v34, v51, v28
	v_fmac_f32_e32 v26, 0x3f167918, v24
	v_add_f32_e32 v24, v46, v51
	v_fmac_f32_e32 v16, 0x3e9e377a, v19
	v_fmamk_f32 v19, v30, 0x3f737871, v17
	v_dual_fmac_f32 v22, 0x3e9e377a, v25 :: v_dual_add_f32 v21, v23, v51
	v_fmac_f32_e32 v26, 0x3e9e377a, v25
	v_fmac_f32_e32 v17, 0xbf737871, v30
	s_delay_alu instid0(VALU_DEP_4)
	v_fmac_f32_e32 v19, 0x3f167918, v32
	v_fmac_f32_e32 v27, -0.5, v24
	v_add_f32_e32 v25, v33, v34
	v_add_f32_e32 v33, v50, v54
	v_sub_f32_e32 v24, v49, v46
	v_sub_f32_e32 v28, v28, v51
	v_fmamk_f32 v23, v32, 0xbf737871, v27
	v_fmac_f32_e32 v19, 0x3e9e377a, v25
	v_fmac_f32_e32 v17, 0xbf167918, v32
	;; [unrolled: 1-line block ×3, first 2 shown]
	s_delay_alu instid0(VALU_DEP_4)
	v_dual_add_f32 v34, v24, v28 :: v_dual_fmac_f32 v23, 0x3f167918, v30
	v_add_f32_e32 v28, v4, v29
	v_fma_f32 v24, -0.5, v33, v4
	v_dual_sub_f32 v33, v52, v40 :: v_dual_sub_f32 v32, v41, v54
	v_sub_f32_e32 v35, v53, v31
	v_fmac_f32_e32 v27, 0xbf167918, v30
	v_dual_sub_f32 v30, v29, v50 :: v_dual_fmac_f32 v17, 0x3e9e377a, v25
	s_delay_alu instid0(VALU_DEP_4) | instskip(SKIP_2) | instid1(VALU_DEP_3)
	v_dual_add_f32 v25, v28, v50 :: v_dual_fmamk_f32 v28, v33, 0xbf737871, v24
	v_fmac_f32_e32 v23, 0x3e9e377a, v34
	v_fmac_f32_e32 v24, 0x3f737871, v33
	v_dual_add_f32 v32, v30, v32 :: v_dual_add_f32 v25, v25, v54
	s_delay_alu instid0(VALU_DEP_4) | instskip(SKIP_1) | instid1(VALU_DEP_4)
	v_fmac_f32_e32 v28, 0xbf167918, v35
	v_fma_f32 v4, -0.5, v36, v4
	v_fmac_f32_e32 v24, 0x3f167918, v35
	s_delay_alu instid0(VALU_DEP_4) | instskip(NEXT) | instid1(VALU_DEP_4)
	v_dual_fmac_f32 v27, 0x3e9e377a, v34 :: v_dual_add_f32 v30, v25, v41
	v_dual_fmac_f32 v28, 0x3e9e377a, v32 :: v_dual_add_f32 v25, v53, v31
	s_delay_alu instid0(VALU_DEP_3) | instskip(SKIP_2) | instid1(VALU_DEP_4)
	v_fmac_f32_e32 v24, 0x3e9e377a, v32
	v_fmamk_f32 v32, v35, 0x3f737871, v4
	v_dual_fmac_f32 v4, 0xbf737871, v35 :: v_dual_add_f32 v35, v5, v52
	v_fma_f32 v25, -0.5, v25, v5
	v_sub_f32_e32 v34, v50, v29
	v_sub_f32_e32 v36, v54, v41
	v_fmac_f32_e32 v32, 0xbf167918, v33
	s_delay_alu instid0(VALU_DEP_4)
	v_fmamk_f32 v29, v37, 0x3f737871, v25
	v_fmac_f32_e32 v4, 0x3f167918, v33
	v_add_f32_e32 v33, v35, v53
	v_add_f32_e32 v35, v52, v40
	;; [unrolled: 1-line block ×3, first 2 shown]
	v_dual_sub_f32 v36, v50, v54 :: v_dual_fmac_f32 v25, 0xbf737871, v37
	s_delay_alu instid0(VALU_DEP_3) | instskip(NEXT) | instid1(VALU_DEP_3)
	v_fmac_f32_e32 v5, -0.5, v35
	v_dual_sub_f32 v35, v52, v53 :: v_dual_fmac_f32 v32, 0x3e9e377a, v34
	s_delay_alu instid0(VALU_DEP_3) | instskip(SKIP_1) | instid1(VALU_DEP_4)
	v_fmac_f32_e32 v29, 0x3f167918, v36
	v_fmac_f32_e32 v4, 0x3e9e377a, v34
	v_dual_add_f32 v34, v33, v31 :: v_dual_fmamk_f32 v33, v36, 0xbf737871, v5
	v_dual_sub_f32 v38, v40, v31 :: v_dual_fmac_f32 v5, 0x3f737871, v36
	v_sub_f32_e32 v31, v31, v40
	v_fmac_f32_e32 v25, 0xbf167918, v36
	s_delay_alu instid0(VALU_DEP_4) | instskip(NEXT) | instid1(VALU_DEP_4)
	v_fmac_f32_e32 v33, 0x3f167918, v37
	v_add_f32_e32 v35, v35, v38
	s_delay_alu instid0(VALU_DEP_4) | instskip(SKIP_1) | instid1(VALU_DEP_3)
	v_dual_fmac_f32 v5, 0xbf167918, v37 :: v_dual_add_f32 v36, v39, v31
	v_add_f32_e32 v31, v34, v40
	v_fmac_f32_e32 v29, 0x3e9e377a, v35
	v_fmac_f32_e32 v25, 0x3e9e377a, v35
	s_delay_alu instid0(VALU_DEP_4)
	v_fmac_f32_e32 v5, 0x3e9e377a, v36
	v_fmac_f32_e32 v33, 0x3e9e377a, v36
	ds_store_b64 v143, v[8:9] offset:2688
	ds_store_b64 v143, v[14:15] offset:5376
	ds_store_b64 v143, v[10:11] offset:8064
	ds_store_b64 v143, v[6:7] offset:10752
	ds_store_2addr_b64 v143, v[12:13], v[20:21] offset1:112
	ds_store_b64 v143, v[26:27] offset:8960
	ds_store_b64 v143, v[16:17] offset:11648
	;; [unrolled: 1-line block ×4, first 2 shown]
	ds_store_2addr_b64 v1, v[18:19], v[28:29] offset0:64 offset1:176
	ds_store_b64 v143, v[32:33] offset:7168
	ds_store_b64 v143, v[4:5] offset:9856
	;; [unrolled: 1-line block ×3, first 2 shown]
	global_wb scope:SCOPE_SE
	s_wait_dscnt 0x0
	s_barrier_signal -1
	s_barrier_wait -1
	global_inv scope:SCOPE_SE
	ds_load_2addr_b64 v[4:7], v143 offset1:112
	ds_load_2addr_b64 v[8:11], v3 offset0:32 offset1:200
	v_mad_co_u64_u32 v[22:23], null, s6, v120, 0
	v_mad_co_u64_u32 v[24:25], null, s4, v144, 0
	s_wait_dscnt 0x1
	v_mul_f32_e32 v3, v134, v5
	s_delay_alu instid0(VALU_DEP_1) | instskip(SKIP_1) | instid1(VALU_DEP_2)
	v_dual_mul_f32 v18, v130, v6 :: v_dual_fmac_f32 v3, v133, v4
	v_mul_f32_e32 v4, v134, v4
	v_cvt_f64_f32_e32 v[12:13], v3
	s_delay_alu instid0(VALU_DEP_2) | instskip(SKIP_3) | instid1(VALU_DEP_3)
	v_fma_f32 v3, v133, v5, -v4
	s_wait_dscnt 0x0
	v_mul_f32_e32 v5, v132, v10
	v_mul_f32_e32 v4, v132, v11
	v_cvt_f64_f32_e32 v[14:15], v3
	s_delay_alu instid0(VALU_DEP_3) | instskip(NEXT) | instid1(VALU_DEP_3)
	v_fma_f32 v3, v131, v11, -v5
	v_dual_fmac_f32 v4, v131, v10 :: v_dual_mul_f32 v5, v130, v7
	s_delay_alu instid0(VALU_DEP_2) | instskip(NEXT) | instid1(VALU_DEP_2)
	v_cvt_f64_f32_e32 v[16:17], v3
	v_cvt_f64_f32_e32 v[10:11], v4
	s_delay_alu instid0(VALU_DEP_3) | instskip(SKIP_2) | instid1(VALU_DEP_3)
	v_fmac_f32_e32 v5, v129, v6
	v_fma_f32 v3, v129, v7, -v18
	v_mov_b32_e32 v7, v23
	v_cvt_f64_f32_e32 v[18:19], v5
	s_delay_alu instid0(VALU_DEP_3) | instskip(SKIP_1) | instid1(VALU_DEP_4)
	v_cvt_f64_f32_e32 v[20:21], v3
	v_add_nc_u32_e32 v3, 0x1c00, v143
	v_mad_co_u64_u32 v[30:31], null, s7, v120, v[7:8]
	ds_load_2addr_b64 v[3:6], v3 offset0:56 offset1:168
	v_mov_b32_e32 v23, v30
	s_delay_alu instid0(VALU_DEP_1)
	v_lshlrev_b64_e32 v[22:23], 3, v[22:23]
	s_wait_alu 0xfffe
	v_mul_f64_e32 v[12:13], s[2:3], v[12:13]
	v_mul_f64_e32 v[14:15], s[2:3], v[14:15]
	s_wait_dscnt 0x0
	v_mul_f32_e32 v28, v128, v4
	v_mul_f64_e32 v[16:17], s[2:3], v[16:17]
	v_mul_f64_e32 v[26:27], s[2:3], v[10:11]
	v_mov_b32_e32 v10, v25
	s_delay_alu instid0(VALU_DEP_4) | instskip(NEXT) | instid1(VALU_DEP_2)
	v_fmac_f32_e32 v28, v127, v3
	v_mad_co_u64_u32 v[10:11], null, s5, v144, v[10:11]
	v_mul_f64_e32 v[18:19], s[2:3], v[18:19]
	v_mul_f64_e32 v[20:21], s[2:3], v[20:21]
	s_delay_alu instid0(VALU_DEP_4) | instskip(NEXT) | instid1(VALU_DEP_4)
	v_cvt_f64_f32_e32 v[28:29], v28
	v_mov_b32_e32 v25, v10
	s_delay_alu instid0(VALU_DEP_1)
	v_lshlrev_b64_e32 v[24:25], 3, v[24:25]
	v_cvt_f32_f64_e32 v30, v[12:13]
	ds_load_2addr_b64 v[10:13], v2 offset0:96 offset1:208
	v_add_co_u32 v2, s0, s8, v22
	s_wait_alu 0xf1ff
	v_add_co_ci_u32_e64 v7, s0, s9, v23, s0
	v_cvt_f32_f64_e32 v31, v[14:15]
	s_delay_alu instid0(VALU_DEP_3)
	v_add_co_u32 v22, s0, v2, v24
	v_mul_f32_e32 v2, v128, v3
	v_add_nc_u32_e32 v3, 0x2400, v143
	s_wait_alu 0xf1ff
	v_add_co_ci_u32_e64 v23, s0, v7, v25, s0
	v_cvt_f32_f64_e32 v25, v[16:17]
	v_fma_f32 v2, v127, v4, -v2
	ds_load_2addr_b64 v[14:17], v3 offset0:24 offset1:136
	v_cvt_f32_f64_e32 v24, v[26:27]
	s_mul_u64 s[0:1], s[4:5], 0x348
	s_movk_i32 s8, 0xfd28
	v_cvt_f64_f32_e32 v[32:33], v2
	ds_load_2addr_b64 v[1:4], v1 offset0:64 offset1:176
	v_cvt_f32_f64_e32 v26, v[18:19]
	v_cvt_f32_f64_e32 v27, v[20:21]
	s_wait_dscnt 0x2
	v_mul_f32_e32 v7, v117, v11
	v_mul_f32_e32 v18, v117, v10
	;; [unrolled: 1-line block ×4, first 2 shown]
	v_mul_f64_e32 v[28:29], s[2:3], v[28:29]
	v_fmac_f32_e32 v7, v116, v10
	v_fma_f32 v10, v116, v11, -v18
	v_fmac_f32_e32 v19, v121, v5
	v_fma_f32 v18, v121, v6, -v20
	s_wait_alu 0xfffe
	s_lshl_b64 s[6:7], s[0:1], 3
	s_mov_b32 s9, -1
	v_cvt_f64_f32_e32 v[10:11], v10
	v_cvt_f64_f32_e32 v[34:35], v19
	v_cvt_f64_f32_e32 v[36:37], v18
	s_wait_alu 0xfffe
	v_add_co_u32 v54, s0, v22, s6
	s_mul_u64 s[4:5], s[4:5], s[8:9]
	s_wait_dscnt 0x0
	v_mul_f32_e32 v44, v115, v4
	v_mul_f32_e32 v21, v107, v13
	;; [unrolled: 1-line block ×4, first 2 shown]
	v_add_co_ci_u32_e64 v55, s0, s7, v23, s0
	v_fmac_f32_e32 v44, v114, v3
	v_fmac_f32_e32 v21, v106, v12
	;; [unrolled: 1-line block ×3, first 2 shown]
	v_fma_f32 v4, v114, v4, -v45
	s_wait_alu 0xfffe
	s_lshl_b64 s[4:5], s[4:5], 3
	v_cvt_f64_f32_e32 v[44:45], v44
	v_cvt_f64_f32_e32 v[38:39], v21
	ds_load_2addr_b64 v[18:21], v0 offset0:120 offset1:232
	v_mul_f32_e32 v0, v107, v12
	v_mul_f32_e32 v12, v109, v14
	v_cvt_f64_f32_e32 v[46:47], v4
	v_mul_f64_e32 v[32:33], s[2:3], v[32:33]
	s_wait_alu 0xfffe
	v_add_co_u32 v56, s0, v54, s4
	v_fma_f32 v0, v106, v13, -v0
	s_wait_alu 0xf1ff
	v_add_co_ci_u32_e64 v57, s0, s5, v55, s0
	s_clause 0x2
	global_store_b64 v[22:23], v[30:31], off
	global_store_b64 v[54:55], v[24:25], off
	;; [unrolled: 1-line block ×3, first 2 shown]
	v_cvt_f32_f64_e32 v28, v[28:29]
	s_wait_dscnt 0x0
	v_mul_f32_e32 v4, v113, v18
	v_mul_f32_e32 v50, v126, v21
	v_cvt_f64_f32_e32 v[5:6], v7
	v_mul_f32_e32 v7, v109, v15
	v_mul_f32_e32 v41, v119, v1
	v_cvt_f64_f32_e32 v[0:1], v0
	v_fmac_f32_e32 v50, v125, v20
	s_delay_alu instid0(VALU_DEP_4) | instskip(SKIP_2) | instid1(VALU_DEP_3)
	v_dual_mul_f32 v48, v113, v19 :: v_dual_fmac_f32 v7, v108, v14
	v_fma_f32 v14, v108, v15, -v12
	v_fma_f32 v2, v118, v2, -v41
	v_dual_mul_f32 v51, v126, v20 :: v_dual_fmac_f32 v48, v112, v18
	s_delay_alu instid0(VALU_DEP_4)
	v_cvt_f64_f32_e32 v[12:13], v7
	v_mul_f32_e32 v7, v111, v16
	v_cvt_f64_f32_e32 v[14:15], v14
	v_cvt_f64_f32_e32 v[42:43], v2
	v_mul_f32_e32 v2, v111, v17
	v_mul_f32_e32 v18, v124, v9
	v_fma_f32 v7, v110, v17, -v7
	v_fma_f32 v4, v112, v19, -v4
	;; [unrolled: 1-line block ×3, first 2 shown]
	v_fmac_f32_e32 v2, v110, v16
	v_fmac_f32_e32 v18, v123, v8
	v_cvt_f64_f32_e32 v[16:17], v7
	v_mul_f32_e32 v7, v124, v8
	v_cvt_f64_f32_e32 v[40:41], v40
	v_cvt_f64_f32_e32 v[2:3], v2
	;; [unrolled: 1-line block ×4, first 2 shown]
	v_fma_f32 v9, v123, v9, -v7
	v_cvt_f64_f32_e32 v[7:8], v4
	v_cvt_f64_f32_e32 v[50:51], v50
	;; [unrolled: 1-line block ×3, first 2 shown]
	v_mul_f64_e32 v[34:35], s[2:3], v[34:35]
	v_cvt_f64_f32_e32 v[20:21], v9
	v_mul_f64_e32 v[9:10], s[2:3], v[10:11]
	v_mul_f64_e32 v[36:37], s[2:3], v[36:37]
	v_mul_f64_e32 v[38:39], s[2:3], v[38:39]
	v_mul_f64_e32 v[26:27], s[2:3], v[44:45]
	v_mul_f64_e32 v[4:5], s[2:3], v[5:6]
	v_mul_f64_e32 v[30:31], s[2:3], v[46:47]
	v_cvt_f32_f64_e32 v29, v[32:33]
	v_mul_f64_e32 v[0:1], s[2:3], v[0:1]
	v_add_co_u32 v32, s0, v56, s6
	s_wait_alu 0xf1ff
	v_add_co_ci_u32_e64 v33, s0, s7, v57, s0
	v_mul_f64_e32 v[11:12], s[2:3], v[12:13]
	v_mul_f64_e32 v[13:14], s[2:3], v[14:15]
	;; [unrolled: 1-line block ×11, first 2 shown]
	v_cvt_f32_f64_e32 v34, v[34:35]
	v_mul_f64_e32 v[19:20], s[2:3], v[20:21]
	v_add_co_u32 v8, s0, v32, s4
	v_cvt_f32_f64_e32 v35, v[36:37]
	v_cvt_f32_f64_e32 v38, v[38:39]
	;; [unrolled: 1-line block ×4, first 2 shown]
	s_wait_alu 0xf1ff
	v_add_co_ci_u32_e64 v9, s0, s5, v33, s0
	v_cvt_f32_f64_e32 v39, v[0:1]
	v_add_co_u32 v36, s0, v8, s6
	s_wait_alu 0xf1ff
	s_delay_alu instid0(VALU_DEP_3)
	v_add_co_ci_u32_e64 v37, s0, s7, v9, s0
	global_store_b64 v[32:33], v[28:29], off
	v_add_co_u32 v10, s0, v36, s4
	v_cvt_f32_f64_e32 v0, v[11:12]
	v_cvt_f32_f64_e32 v1, v[13:14]
	s_wait_alu 0xf1ff
	v_add_co_ci_u32_e64 v11, s0, s5, v37, s0
	v_cvt_f32_f64_e32 v13, v[24:25]
	v_cvt_f32_f64_e32 v14, v[26:27]
	;; [unrolled: 1-line block ×9, first 2 shown]
	v_add_co_u32 v18, s0, v10, s6
	v_cvt_f32_f64_e32 v7, v[19:20]
	s_wait_alu 0xf1ff
	v_add_co_ci_u32_e64 v19, s0, s7, v11, s0
	v_cvt_f32_f64_e32 v16, v[42:43]
	v_cvt_f32_f64_e32 v17, v[44:45]
	v_add_co_u32 v23, s0, v18, s4
	s_wait_alu 0xf1ff
	v_add_co_ci_u32_e64 v24, s0, s5, v19, s0
	global_store_b64 v[8:9], v[4:5], off
	v_add_co_u32 v4, s0, v23, s6
	s_wait_alu 0xf1ff
	v_add_co_ci_u32_e64 v5, s0, s7, v24, s0
	global_store_b64 v[36:37], v[34:35], off
	v_add_co_u32 v8, s0, v4, s4
	s_wait_alu 0xf1ff
	v_add_co_ci_u32_e64 v9, s0, s5, v5, s0
	global_store_b64 v[10:11], v[38:39], off
	v_add_co_u32 v10, s0, v8, s6
	s_wait_alu 0xf1ff
	v_add_co_ci_u32_e64 v11, s0, s7, v9, s0
	global_store_b64 v[18:19], v[0:1], off
	v_add_co_u32 v18, s0, v10, s4
	s_wait_alu 0xf1ff
	v_add_co_ci_u32_e64 v19, s0, s5, v11, s0
	global_store_b64 v[23:24], v[12:13], off
	v_add_co_u32 v0, s0, v18, s6
	s_wait_alu 0xf1ff
	v_add_co_ci_u32_e64 v1, s0, s7, v19, s0
	global_store_b64 v[4:5], v[2:3], off
	global_store_b64 v[8:9], v[14:15], off
	global_store_b64 v[10:11], v[21:22], off
	;; [unrolled: 1-line block ×4, first 2 shown]
	s_and_b32 exec_lo, exec_lo, vcc_lo
	s_cbranch_execz .LBB0_47
; %bb.46:
	global_load_b64 v[2:3], v[104:105], off offset:6272
	ds_load_b64 v[4:5], v143 offset:6272
	ds_load_b64 v[6:7], v143 offset:12992
	v_add_co_u32 v0, vcc_lo, v0, s4
	s_wait_alu 0xfffd
	v_add_co_ci_u32_e32 v1, vcc_lo, s5, v1, vcc_lo
	s_wait_loadcnt_dscnt 0x1
	v_mul_f32_e32 v8, v5, v3
	v_mul_f32_e32 v3, v4, v3
	s_delay_alu instid0(VALU_DEP_2) | instskip(NEXT) | instid1(VALU_DEP_2)
	v_fmac_f32_e32 v8, v4, v2
	v_fma_f32 v4, v2, v5, -v3
	s_delay_alu instid0(VALU_DEP_2) | instskip(NEXT) | instid1(VALU_DEP_2)
	v_cvt_f64_f32_e32 v[2:3], v8
	v_cvt_f64_f32_e32 v[4:5], v4
	s_delay_alu instid0(VALU_DEP_2) | instskip(NEXT) | instid1(VALU_DEP_2)
	v_mul_f64_e32 v[2:3], s[2:3], v[2:3]
	v_mul_f64_e32 v[4:5], s[2:3], v[4:5]
	s_delay_alu instid0(VALU_DEP_2) | instskip(NEXT) | instid1(VALU_DEP_2)
	v_cvt_f32_f64_e32 v2, v[2:3]
	v_cvt_f32_f64_e32 v3, v[4:5]
	global_store_b64 v[0:1], v[2:3], off
	global_load_b64 v[2:3], v[104:105], off offset:12992
	v_add_co_u32 v0, vcc_lo, v0, s6
	s_wait_alu 0xfffd
	v_add_co_ci_u32_e32 v1, vcc_lo, s7, v1, vcc_lo
	s_wait_loadcnt_dscnt 0x0
	v_mul_f32_e32 v4, v7, v3
	v_mul_f32_e32 v3, v6, v3
	s_delay_alu instid0(VALU_DEP_2) | instskip(NEXT) | instid1(VALU_DEP_2)
	v_fmac_f32_e32 v4, v6, v2
	v_fma_f32 v5, v2, v7, -v3
	s_delay_alu instid0(VALU_DEP_2) | instskip(NEXT) | instid1(VALU_DEP_2)
	v_cvt_f64_f32_e32 v[2:3], v4
	v_cvt_f64_f32_e32 v[4:5], v5
	s_delay_alu instid0(VALU_DEP_2) | instskip(NEXT) | instid1(VALU_DEP_2)
	v_mul_f64_e32 v[2:3], s[2:3], v[2:3]
	v_mul_f64_e32 v[4:5], s[2:3], v[4:5]
	s_delay_alu instid0(VALU_DEP_2) | instskip(NEXT) | instid1(VALU_DEP_2)
	v_cvt_f32_f64_e32 v2, v[2:3]
	v_cvt_f32_f64_e32 v3, v[4:5]
	global_store_b64 v[0:1], v[2:3], off
.LBB0_47:
	s_nop 0
	s_sendmsg sendmsg(MSG_DEALLOC_VGPRS)
	s_endpgm
	.section	.rodata,"a",@progbits
	.p2align	6, 0x0
	.amdhsa_kernel bluestein_single_back_len1680_dim1_sp_op_CI_CI
		.amdhsa_group_segment_fixed_size 13440
		.amdhsa_private_segment_fixed_size 0
		.amdhsa_kernarg_size 104
		.amdhsa_user_sgpr_count 2
		.amdhsa_user_sgpr_dispatch_ptr 0
		.amdhsa_user_sgpr_queue_ptr 0
		.amdhsa_user_sgpr_kernarg_segment_ptr 1
		.amdhsa_user_sgpr_dispatch_id 0
		.amdhsa_user_sgpr_private_segment_size 0
		.amdhsa_wavefront_size32 1
		.amdhsa_uses_dynamic_stack 0
		.amdhsa_enable_private_segment 0
		.amdhsa_system_sgpr_workgroup_id_x 1
		.amdhsa_system_sgpr_workgroup_id_y 0
		.amdhsa_system_sgpr_workgroup_id_z 0
		.amdhsa_system_sgpr_workgroup_info 0
		.amdhsa_system_vgpr_workitem_id 0
		.amdhsa_next_free_vgpr 244
		.amdhsa_next_free_sgpr 18
		.amdhsa_reserve_vcc 1
		.amdhsa_float_round_mode_32 0
		.amdhsa_float_round_mode_16_64 0
		.amdhsa_float_denorm_mode_32 3
		.amdhsa_float_denorm_mode_16_64 3
		.amdhsa_fp16_overflow 0
		.amdhsa_workgroup_processor_mode 1
		.amdhsa_memory_ordered 1
		.amdhsa_forward_progress 0
		.amdhsa_round_robin_scheduling 0
		.amdhsa_exception_fp_ieee_invalid_op 0
		.amdhsa_exception_fp_denorm_src 0
		.amdhsa_exception_fp_ieee_div_zero 0
		.amdhsa_exception_fp_ieee_overflow 0
		.amdhsa_exception_fp_ieee_underflow 0
		.amdhsa_exception_fp_ieee_inexact 0
		.amdhsa_exception_int_div_zero 0
	.end_amdhsa_kernel
	.text
.Lfunc_end0:
	.size	bluestein_single_back_len1680_dim1_sp_op_CI_CI, .Lfunc_end0-bluestein_single_back_len1680_dim1_sp_op_CI_CI
                                        ; -- End function
	.section	.AMDGPU.csdata,"",@progbits
; Kernel info:
; codeLenInByte = 19284
; NumSgprs: 20
; NumVgprs: 244
; ScratchSize: 0
; MemoryBound: 0
; FloatMode: 240
; IeeeMode: 1
; LDSByteSize: 13440 bytes/workgroup (compile time only)
; SGPRBlocks: 2
; VGPRBlocks: 30
; NumSGPRsForWavesPerEU: 20
; NumVGPRsForWavesPerEU: 244
; Occupancy: 5
; WaveLimiterHint : 1
; COMPUTE_PGM_RSRC2:SCRATCH_EN: 0
; COMPUTE_PGM_RSRC2:USER_SGPR: 2
; COMPUTE_PGM_RSRC2:TRAP_HANDLER: 0
; COMPUTE_PGM_RSRC2:TGID_X_EN: 1
; COMPUTE_PGM_RSRC2:TGID_Y_EN: 0
; COMPUTE_PGM_RSRC2:TGID_Z_EN: 0
; COMPUTE_PGM_RSRC2:TIDIG_COMP_CNT: 0
	.text
	.p2alignl 7, 3214868480
	.fill 96, 4, 3214868480
	.type	__hip_cuid_982f662d6f0713aa,@object ; @__hip_cuid_982f662d6f0713aa
	.section	.bss,"aw",@nobits
	.globl	__hip_cuid_982f662d6f0713aa
__hip_cuid_982f662d6f0713aa:
	.byte	0                               ; 0x0
	.size	__hip_cuid_982f662d6f0713aa, 1

	.ident	"AMD clang version 19.0.0git (https://github.com/RadeonOpenCompute/llvm-project roc-6.4.0 25133 c7fe45cf4b819c5991fe208aaa96edf142730f1d)"
	.section	".note.GNU-stack","",@progbits
	.addrsig
	.addrsig_sym __hip_cuid_982f662d6f0713aa
	.amdgpu_metadata
---
amdhsa.kernels:
  - .args:
      - .actual_access:  read_only
        .address_space:  global
        .offset:         0
        .size:           8
        .value_kind:     global_buffer
      - .actual_access:  read_only
        .address_space:  global
        .offset:         8
        .size:           8
        .value_kind:     global_buffer
      - .actual_access:  read_only
        .address_space:  global
        .offset:         16
        .size:           8
        .value_kind:     global_buffer
      - .actual_access:  read_only
        .address_space:  global
        .offset:         24
        .size:           8
        .value_kind:     global_buffer
      - .actual_access:  read_only
        .address_space:  global
        .offset:         32
        .size:           8
        .value_kind:     global_buffer
      - .offset:         40
        .size:           8
        .value_kind:     by_value
      - .address_space:  global
        .offset:         48
        .size:           8
        .value_kind:     global_buffer
      - .address_space:  global
        .offset:         56
        .size:           8
        .value_kind:     global_buffer
      - .address_space:  global
        .offset:         64
        .size:           8
        .value_kind:     global_buffer
      - .address_space:  global
        .offset:         72
        .size:           8
        .value_kind:     global_buffer
      - .offset:         80
        .size:           4
        .value_kind:     by_value
      - .address_space:  global
        .offset:         88
        .size:           8
        .value_kind:     global_buffer
      - .address_space:  global
        .offset:         96
        .size:           8
        .value_kind:     global_buffer
    .group_segment_fixed_size: 13440
    .kernarg_segment_align: 8
    .kernarg_segment_size: 104
    .language:       OpenCL C
    .language_version:
      - 2
      - 0
    .max_flat_workgroup_size: 112
    .name:           bluestein_single_back_len1680_dim1_sp_op_CI_CI
    .private_segment_fixed_size: 0
    .sgpr_count:     20
    .sgpr_spill_count: 0
    .symbol:         bluestein_single_back_len1680_dim1_sp_op_CI_CI.kd
    .uniform_work_group_size: 1
    .uses_dynamic_stack: false
    .vgpr_count:     244
    .vgpr_spill_count: 0
    .wavefront_size: 32
    .workgroup_processor_mode: 1
amdhsa.target:   amdgcn-amd-amdhsa--gfx1201
amdhsa.version:
  - 1
  - 2
...

	.end_amdgpu_metadata
